;; amdgpu-corpus repo=ROCm/rocFFT kind=compiled arch=gfx1201 opt=O3
	.text
	.amdgcn_target "amdgcn-amd-amdhsa--gfx1201"
	.amdhsa_code_object_version 6
	.protected	fft_rtc_fwd_len2040_factors_17_4_3_10_wgs_170_tpt_170_halfLds_dp_op_CI_CI_sbrr_dirReg ; -- Begin function fft_rtc_fwd_len2040_factors_17_4_3_10_wgs_170_tpt_170_halfLds_dp_op_CI_CI_sbrr_dirReg
	.globl	fft_rtc_fwd_len2040_factors_17_4_3_10_wgs_170_tpt_170_halfLds_dp_op_CI_CI_sbrr_dirReg
	.p2align	8
	.type	fft_rtc_fwd_len2040_factors_17_4_3_10_wgs_170_tpt_170_halfLds_dp_op_CI_CI_sbrr_dirReg,@function
fft_rtc_fwd_len2040_factors_17_4_3_10_wgs_170_tpt_170_halfLds_dp_op_CI_CI_sbrr_dirReg: ; @fft_rtc_fwd_len2040_factors_17_4_3_10_wgs_170_tpt_170_halfLds_dp_op_CI_CI_sbrr_dirReg
; %bb.0:
	s_clause 0x2
	s_load_b128 s[12:15], s[0:1], 0x18
	s_load_b128 s[4:7], s[0:1], 0x0
	;; [unrolled: 1-line block ×3, first 2 shown]
	v_mul_u32_u24_e32 v1, 0x182, v0
	v_mov_b32_e32 v3, 0
	s_wait_kmcnt 0x0
	s_load_b64 s[18:19], s[12:13], 0x0
	s_load_b64 s[16:17], s[14:15], 0x0
	v_lshrrev_b32_e32 v1, 16, v1
	v_cmp_lt_u64_e64 s2, s[6:7], 2
	s_delay_alu instid0(VALU_DEP_2)
	v_add_nc_u32_e32 v5, ttmp9, v1
	v_mov_b32_e32 v1, 0
	v_mov_b32_e32 v2, 0
	;; [unrolled: 1-line block ×3, first 2 shown]
	s_and_b32 vcc_lo, exec_lo, s2
	s_cbranch_vccnz .LBB0_8
; %bb.1:
	s_load_b64 s[2:3], s[0:1], 0x10
	v_mov_b32_e32 v1, 0
	v_mov_b32_e32 v2, 0
	s_add_nc_u64 s[20:21], s[14:15], 8
	s_add_nc_u64 s[22:23], s[12:13], 8
	s_mov_b64 s[24:25], 1
	s_delay_alu instid0(VALU_DEP_1)
	v_dual_mov_b32 v111, v2 :: v_dual_mov_b32 v110, v1
	s_wait_kmcnt 0x0
	s_add_nc_u64 s[26:27], s[2:3], 8
	s_mov_b32 s3, 0
.LBB0_2:                                ; =>This Inner Loop Header: Depth=1
	s_load_b64 s[28:29], s[26:27], 0x0
                                        ; implicit-def: $vgpr112_vgpr113
	s_mov_b32 s2, exec_lo
	s_wait_kmcnt 0x0
	v_or_b32_e32 v4, s29, v6
	s_delay_alu instid0(VALU_DEP_1)
	v_cmpx_ne_u64_e32 0, v[3:4]
	s_wait_alu 0xfffe
	s_xor_b32 s30, exec_lo, s2
	s_cbranch_execz .LBB0_4
; %bb.3:                                ;   in Loop: Header=BB0_2 Depth=1
	s_cvt_f32_u32 s2, s28
	s_cvt_f32_u32 s31, s29
	s_sub_nc_u64 s[36:37], 0, s[28:29]
	s_wait_alu 0xfffe
	s_delay_alu instid0(SALU_CYCLE_1) | instskip(SKIP_1) | instid1(SALU_CYCLE_2)
	s_fmamk_f32 s2, s31, 0x4f800000, s2
	s_wait_alu 0xfffe
	v_s_rcp_f32 s2, s2
	s_delay_alu instid0(TRANS32_DEP_1) | instskip(SKIP_1) | instid1(SALU_CYCLE_2)
	s_mul_f32 s2, s2, 0x5f7ffffc
	s_wait_alu 0xfffe
	s_mul_f32 s31, s2, 0x2f800000
	s_wait_alu 0xfffe
	s_delay_alu instid0(SALU_CYCLE_2) | instskip(SKIP_1) | instid1(SALU_CYCLE_2)
	s_trunc_f32 s31, s31
	s_wait_alu 0xfffe
	s_fmamk_f32 s2, s31, 0xcf800000, s2
	s_cvt_u32_f32 s35, s31
	s_wait_alu 0xfffe
	s_delay_alu instid0(SALU_CYCLE_1) | instskip(SKIP_1) | instid1(SALU_CYCLE_2)
	s_cvt_u32_f32 s34, s2
	s_wait_alu 0xfffe
	s_mul_u64 s[38:39], s[36:37], s[34:35]
	s_wait_alu 0xfffe
	s_mul_hi_u32 s41, s34, s39
	s_mul_i32 s40, s34, s39
	s_mul_hi_u32 s2, s34, s38
	s_mul_i32 s33, s35, s38
	s_wait_alu 0xfffe
	s_add_nc_u64 s[40:41], s[2:3], s[40:41]
	s_mul_hi_u32 s31, s35, s38
	s_mul_hi_u32 s42, s35, s39
	s_add_co_u32 s2, s40, s33
	s_wait_alu 0xfffe
	s_add_co_ci_u32 s2, s41, s31
	s_mul_i32 s38, s35, s39
	s_add_co_ci_u32 s39, s42, 0
	s_wait_alu 0xfffe
	s_add_nc_u64 s[38:39], s[2:3], s[38:39]
	s_wait_alu 0xfffe
	v_add_co_u32 v4, s2, s34, s38
	s_delay_alu instid0(VALU_DEP_1) | instskip(SKIP_1) | instid1(VALU_DEP_1)
	s_cmp_lg_u32 s2, 0
	s_add_co_ci_u32 s35, s35, s39
	v_readfirstlane_b32 s34, v4
	s_wait_alu 0xfffe
	s_delay_alu instid0(VALU_DEP_1)
	s_mul_u64 s[36:37], s[36:37], s[34:35]
	s_wait_alu 0xfffe
	s_mul_hi_u32 s39, s34, s37
	s_mul_i32 s38, s34, s37
	s_mul_hi_u32 s2, s34, s36
	s_mul_i32 s33, s35, s36
	s_wait_alu 0xfffe
	s_add_nc_u64 s[38:39], s[2:3], s[38:39]
	s_mul_hi_u32 s31, s35, s36
	s_mul_hi_u32 s34, s35, s37
	s_wait_alu 0xfffe
	s_add_co_u32 s2, s38, s33
	s_add_co_ci_u32 s2, s39, s31
	s_mul_i32 s36, s35, s37
	s_add_co_ci_u32 s37, s34, 0
	s_wait_alu 0xfffe
	s_add_nc_u64 s[36:37], s[2:3], s[36:37]
	s_wait_alu 0xfffe
	v_add_co_u32 v4, s2, v4, s36
	s_delay_alu instid0(VALU_DEP_1) | instskip(SKIP_1) | instid1(VALU_DEP_1)
	s_cmp_lg_u32 s2, 0
	s_add_co_ci_u32 s2, s35, s37
	v_mul_hi_u32 v13, v5, v4
	s_wait_alu 0xfffe
	v_mad_co_u64_u32 v[7:8], null, v5, s2, 0
	v_mad_co_u64_u32 v[9:10], null, v6, v4, 0
	;; [unrolled: 1-line block ×3, first 2 shown]
	s_delay_alu instid0(VALU_DEP_3) | instskip(SKIP_1) | instid1(VALU_DEP_4)
	v_add_co_u32 v4, vcc_lo, v13, v7
	s_wait_alu 0xfffd
	v_add_co_ci_u32_e32 v7, vcc_lo, 0, v8, vcc_lo
	s_delay_alu instid0(VALU_DEP_2) | instskip(SKIP_1) | instid1(VALU_DEP_2)
	v_add_co_u32 v4, vcc_lo, v4, v9
	s_wait_alu 0xfffd
	v_add_co_ci_u32_e32 v4, vcc_lo, v7, v10, vcc_lo
	s_wait_alu 0xfffd
	v_add_co_ci_u32_e32 v7, vcc_lo, 0, v12, vcc_lo
	s_delay_alu instid0(VALU_DEP_2) | instskip(SKIP_1) | instid1(VALU_DEP_2)
	v_add_co_u32 v4, vcc_lo, v4, v11
	s_wait_alu 0xfffd
	v_add_co_ci_u32_e32 v9, vcc_lo, 0, v7, vcc_lo
	s_delay_alu instid0(VALU_DEP_2) | instskip(SKIP_1) | instid1(VALU_DEP_3)
	v_mul_lo_u32 v10, s29, v4
	v_mad_co_u64_u32 v[7:8], null, s28, v4, 0
	v_mul_lo_u32 v11, s28, v9
	s_delay_alu instid0(VALU_DEP_2) | instskip(NEXT) | instid1(VALU_DEP_2)
	v_sub_co_u32 v7, vcc_lo, v5, v7
	v_add3_u32 v8, v8, v11, v10
	s_delay_alu instid0(VALU_DEP_1) | instskip(SKIP_1) | instid1(VALU_DEP_1)
	v_sub_nc_u32_e32 v10, v6, v8
	s_wait_alu 0xfffd
	v_subrev_co_ci_u32_e64 v10, s2, s29, v10, vcc_lo
	v_add_co_u32 v11, s2, v4, 2
	s_wait_alu 0xf1ff
	v_add_co_ci_u32_e64 v12, s2, 0, v9, s2
	v_sub_co_u32 v13, s2, v7, s28
	v_sub_co_ci_u32_e32 v8, vcc_lo, v6, v8, vcc_lo
	s_wait_alu 0xf1ff
	v_subrev_co_ci_u32_e64 v10, s2, 0, v10, s2
	s_delay_alu instid0(VALU_DEP_3) | instskip(NEXT) | instid1(VALU_DEP_3)
	v_cmp_le_u32_e32 vcc_lo, s28, v13
	v_cmp_eq_u32_e64 s2, s29, v8
	s_wait_alu 0xfffd
	v_cndmask_b32_e64 v13, 0, -1, vcc_lo
	v_cmp_le_u32_e32 vcc_lo, s29, v10
	s_wait_alu 0xfffd
	v_cndmask_b32_e64 v14, 0, -1, vcc_lo
	v_cmp_le_u32_e32 vcc_lo, s28, v7
	;; [unrolled: 3-line block ×3, first 2 shown]
	s_wait_alu 0xfffd
	v_cndmask_b32_e64 v15, 0, -1, vcc_lo
	v_cmp_eq_u32_e32 vcc_lo, s29, v10
	s_wait_alu 0xf1ff
	s_delay_alu instid0(VALU_DEP_2)
	v_cndmask_b32_e64 v7, v15, v7, s2
	s_wait_alu 0xfffd
	v_cndmask_b32_e32 v10, v14, v13, vcc_lo
	v_add_co_u32 v13, vcc_lo, v4, 1
	s_wait_alu 0xfffd
	v_add_co_ci_u32_e32 v14, vcc_lo, 0, v9, vcc_lo
	s_delay_alu instid0(VALU_DEP_3) | instskip(SKIP_1) | instid1(VALU_DEP_2)
	v_cmp_ne_u32_e32 vcc_lo, 0, v10
	s_wait_alu 0xfffd
	v_cndmask_b32_e32 v8, v14, v12, vcc_lo
	v_cndmask_b32_e32 v10, v13, v11, vcc_lo
	v_cmp_ne_u32_e32 vcc_lo, 0, v7
	s_wait_alu 0xfffd
	s_delay_alu instid0(VALU_DEP_2)
	v_dual_cndmask_b32 v113, v9, v8 :: v_dual_cndmask_b32 v112, v4, v10
.LBB0_4:                                ;   in Loop: Header=BB0_2 Depth=1
	s_wait_alu 0xfffe
	s_and_not1_saveexec_b32 s2, s30
	s_cbranch_execz .LBB0_6
; %bb.5:                                ;   in Loop: Header=BB0_2 Depth=1
	v_cvt_f32_u32_e32 v4, s28
	s_sub_co_i32 s30, 0, s28
	v_mov_b32_e32 v113, v3
	s_delay_alu instid0(VALU_DEP_2) | instskip(NEXT) | instid1(TRANS32_DEP_1)
	v_rcp_iflag_f32_e32 v4, v4
	v_mul_f32_e32 v4, 0x4f7ffffe, v4
	s_delay_alu instid0(VALU_DEP_1) | instskip(SKIP_1) | instid1(VALU_DEP_1)
	v_cvt_u32_f32_e32 v4, v4
	s_wait_alu 0xfffe
	v_mul_lo_u32 v7, s30, v4
	s_delay_alu instid0(VALU_DEP_1) | instskip(NEXT) | instid1(VALU_DEP_1)
	v_mul_hi_u32 v7, v4, v7
	v_add_nc_u32_e32 v4, v4, v7
	s_delay_alu instid0(VALU_DEP_1) | instskip(NEXT) | instid1(VALU_DEP_1)
	v_mul_hi_u32 v4, v5, v4
	v_mul_lo_u32 v7, v4, s28
	v_add_nc_u32_e32 v8, 1, v4
	s_delay_alu instid0(VALU_DEP_2) | instskip(NEXT) | instid1(VALU_DEP_1)
	v_sub_nc_u32_e32 v7, v5, v7
	v_subrev_nc_u32_e32 v9, s28, v7
	v_cmp_le_u32_e32 vcc_lo, s28, v7
	s_wait_alu 0xfffd
	s_delay_alu instid0(VALU_DEP_2) | instskip(NEXT) | instid1(VALU_DEP_1)
	v_dual_cndmask_b32 v7, v7, v9 :: v_dual_cndmask_b32 v4, v4, v8
	v_cmp_le_u32_e32 vcc_lo, s28, v7
	s_delay_alu instid0(VALU_DEP_2) | instskip(SKIP_1) | instid1(VALU_DEP_1)
	v_add_nc_u32_e32 v8, 1, v4
	s_wait_alu 0xfffd
	v_cndmask_b32_e32 v112, v4, v8, vcc_lo
.LBB0_6:                                ;   in Loop: Header=BB0_2 Depth=1
	s_wait_alu 0xfffe
	s_or_b32 exec_lo, exec_lo, s2
	v_mul_lo_u32 v4, v113, s28
	s_delay_alu instid0(VALU_DEP_2)
	v_mul_lo_u32 v9, v112, s29
	s_load_b64 s[30:31], s[22:23], 0x0
	v_mad_co_u64_u32 v[7:8], null, v112, s28, 0
	s_load_b64 s[28:29], s[20:21], 0x0
	s_add_nc_u64 s[24:25], s[24:25], 1
	s_add_nc_u64 s[20:21], s[20:21], 8
	s_wait_alu 0xfffe
	v_cmp_ge_u64_e64 s2, s[24:25], s[6:7]
	s_add_nc_u64 s[22:23], s[22:23], 8
	s_add_nc_u64 s[26:27], s[26:27], 8
	v_add3_u32 v4, v8, v9, v4
	v_sub_co_u32 v5, vcc_lo, v5, v7
	s_wait_alu 0xfffd
	s_delay_alu instid0(VALU_DEP_2) | instskip(SKIP_2) | instid1(VALU_DEP_1)
	v_sub_co_ci_u32_e32 v4, vcc_lo, v6, v4, vcc_lo
	s_and_b32 vcc_lo, exec_lo, s2
	s_wait_kmcnt 0x0
	v_mul_lo_u32 v6, s30, v4
	v_mul_lo_u32 v7, s31, v5
	v_mad_co_u64_u32 v[1:2], null, s30, v5, v[1:2]
	v_mul_lo_u32 v4, s28, v4
	v_mul_lo_u32 v8, s29, v5
	v_mad_co_u64_u32 v[110:111], null, s28, v5, v[110:111]
	s_delay_alu instid0(VALU_DEP_4) | instskip(NEXT) | instid1(VALU_DEP_2)
	v_add3_u32 v2, v7, v2, v6
	v_add3_u32 v111, v8, v111, v4
	s_wait_alu 0xfffe
	s_cbranch_vccnz .LBB0_9
; %bb.7:                                ;   in Loop: Header=BB0_2 Depth=1
	v_dual_mov_b32 v5, v112 :: v_dual_mov_b32 v6, v113
	s_branch .LBB0_2
.LBB0_8:
	s_delay_alu instid0(VALU_DEP_2) | instskip(NEXT) | instid1(VALU_DEP_2)
	v_dual_mov_b32 v111, v2 :: v_dual_mov_b32 v110, v1
	v_dual_mov_b32 v113, v6 :: v_dual_mov_b32 v112, v5
.LBB0_9:
	s_load_b64 s[0:1], s[0:1], 0x28
	v_mul_hi_u32 v3, 0x1818182, v0
	s_lshl_b64 s[2:3], s[6:7], 3
                                        ; implicit-def: $vgpr52_vgpr53
                                        ; implicit-def: $vgpr64_vgpr65
                                        ; implicit-def: $vgpr68_vgpr69
                                        ; implicit-def: $vgpr84_vgpr85
                                        ; implicit-def: $vgpr48_vgpr49
                                        ; implicit-def: $vgpr56_vgpr57
                                        ; implicit-def: $vgpr14_vgpr15
                                        ; implicit-def: $vgpr24_vgpr25
                                        ; implicit-def: $vgpr32_vgpr33
                                        ; implicit-def: $vgpr36_vgpr37
                                        ; implicit-def: $vgpr40_vgpr41
                                        ; implicit-def: $vgpr44_vgpr45
                                        ; implicit-def: $vgpr60_vgpr61
                                        ; implicit-def: $vgpr80_vgpr81
                                        ; implicit-def: $vgpr72_vgpr73
                                        ; implicit-def: $vgpr76_vgpr77
                                        ; implicit-def: $vgpr28_vgpr29
	s_delay_alu instid0(VALU_DEP_1) | instskip(NEXT) | instid1(VALU_DEP_1)
	v_mul_u32_u24_e32 v3, 0xaa, v3
	v_sub_nc_u32_e32 v194, v0, v3
	s_wait_kmcnt 0x0
	v_cmp_gt_u64_e32 vcc_lo, s[0:1], v[112:113]
	s_delay_alu instid0(VALU_DEP_2) | instskip(NEXT) | instid1(VALU_DEP_1)
	v_cmp_gt_u32_e64 s0, 0x78, v194
	s_and_b32 s1, vcc_lo, s0
	s_wait_alu 0xfffe
	s_and_saveexec_b32 s6, s1
	s_cbranch_execz .LBB0_11
; %bb.10:
	s_add_nc_u64 s[12:13], s[12:13], s[2:3]
	v_mad_co_u64_u32 v[3:4], null, s18, v194, 0
	s_load_b64 s[12:13], s[12:13], 0x0
	v_add_nc_u32_e32 v15, 0x78, v194
	v_add_nc_u32_e32 v16, 0xf0, v194
	s_delay_alu instid0(VALU_DEP_3) | instskip(NEXT) | instid1(VALU_DEP_3)
	v_mov_b32_e32 v0, v4
	v_mad_co_u64_u32 v[5:6], null, s18, v15, 0
	s_delay_alu instid0(VALU_DEP_3) | instskip(NEXT) | instid1(VALU_DEP_3)
	v_mad_co_u64_u32 v[7:8], null, s18, v16, 0
	v_mad_co_u64_u32 v[13:14], null, s19, v194, v[0:1]
	v_add_nc_u32_e32 v17, 0x168, v194
	v_lshlrev_b64_e32 v[0:1], 4, v[1:2]
	v_dual_mov_b32 v2, v6 :: v_dual_add_nc_u32 v19, 0x1e0, v194
	v_mov_b32_e32 v6, v8
	s_delay_alu instid0(VALU_DEP_4) | instskip(SKIP_4) | instid1(VALU_DEP_1)
	v_mad_co_u64_u32 v[11:12], null, s18, v17, 0
	s_wait_kmcnt 0x0
	v_mul_lo_u32 v4, s13, v112
	v_mul_lo_u32 v18, s12, v113
	v_mad_co_u64_u32 v[9:10], null, s12, v112, 0
	v_add3_u32 v10, v10, v18, v4
	v_mov_b32_e32 v4, v13
	v_mad_co_u64_u32 v[13:14], null, s19, v15, v[2:3]
	v_mad_co_u64_u32 v[14:15], null, s19, v16, v[6:7]
	v_add_nc_u32_e32 v15, 0x2d0, v194
	v_lshlrev_b64_e32 v[8:9], 4, v[9:10]
	v_lshlrev_b64_e32 v[2:3], 4, v[3:4]
	v_add_nc_u32_e32 v16, 0x348, v194
	v_mov_b32_e32 v6, v13
	s_delay_alu instid0(VALU_DEP_4) | instskip(SKIP_3) | instid1(VALU_DEP_3)
	v_add_co_u32 v4, s1, s8, v8
	s_wait_alu 0xf1ff
	v_add_co_ci_u32_e64 v8, s1, s9, v9, s1
	v_mad_co_u64_u32 v[9:10], null, s19, v17, v[12:13]
	v_add_co_u32 v18, s1, v4, v0
	s_wait_alu 0xf1ff
	s_delay_alu instid0(VALU_DEP_3) | instskip(SKIP_1) | instid1(VALU_DEP_3)
	v_add_co_ci_u32_e64 v20, s1, v8, v1, s1
	v_lshlrev_b64_e32 v[0:1], 4, v[5:6]
	v_add_co_u32 v2, s1, v18, v2
	v_mad_co_u64_u32 v[4:5], null, s18, v19, 0
	s_wait_alu 0xf1ff
	v_add_co_ci_u32_e64 v3, s1, v20, v3, s1
	s_delay_alu instid0(VALU_DEP_4)
	v_add_co_u32 v0, s1, v18, v0
	v_mov_b32_e32 v8, v14
	v_add_nc_u32_e32 v10, 0x258, v194
	s_wait_alu 0xf1ff
	v_add_co_ci_u32_e64 v1, s1, v20, v1, s1
	s_clause 0x1
	global_load_b128 v[26:29], v[2:3], off
	global_load_b128 v[50:53], v[0:1], off
	v_lshlrev_b64_e32 v[0:1], 4, v[7:8]
	v_dual_mov_b32 v2, v5 :: v_dual_add_nc_u32 v17, 0x3c0, v194
	v_mad_co_u64_u32 v[6:7], null, s18, v10, 0
	v_mov_b32_e32 v12, v9
	s_delay_alu instid0(VALU_DEP_3)
	v_mad_co_u64_u32 v[2:3], null, s19, v19, v[2:3]
	v_add_co_u32 v0, s1, v18, v0
	s_wait_alu 0xf1ff
	v_add_co_ci_u32_e64 v1, s1, v20, v1, s1
	v_mov_b32_e32 v3, v7
	v_lshlrev_b64_e32 v[7:8], 4, v[11:12]
	v_mov_b32_e32 v5, v2
	v_mad_co_u64_u32 v[13:14], null, s18, v16, 0
	s_delay_alu instid0(VALU_DEP_4) | instskip(SKIP_4) | instid1(VALU_DEP_4)
	v_mad_co_u64_u32 v[2:3], null, s19, v10, v[3:4]
	v_mad_co_u64_u32 v[9:10], null, s18, v15, 0
	v_add_co_u32 v11, s1, v18, v7
	s_wait_alu 0xf1ff
	v_add_co_ci_u32_e64 v12, s1, v20, v8, s1
	v_mov_b32_e32 v7, v2
	v_lshlrev_b64_e32 v[2:3], 4, v[4:5]
	v_mov_b32_e32 v4, v10
	v_or_b32_e32 v19, 0x780, v194
	s_delay_alu instid0(VALU_DEP_4) | instskip(NEXT) | instid1(VALU_DEP_4)
	v_lshlrev_b64_e32 v[5:6], 4, v[6:7]
	v_add_co_u32 v2, s1, v18, v2
	s_wait_alu 0xf1ff
	v_add_co_ci_u32_e64 v3, s1, v20, v3, s1
	s_delay_alu instid0(VALU_DEP_3)
	v_mad_co_u64_u32 v[7:8], null, s19, v15, v[4:5]
	v_mov_b32_e32 v4, v14
	v_add_co_u32 v5, s1, v18, v5
	s_wait_alu 0xf1ff
	v_add_co_ci_u32_e64 v6, s1, v20, v6, s1
	s_clause 0x3
	global_load_b128 v[62:65], v[0:1], off
	global_load_b128 v[74:77], v[11:12], off
	;; [unrolled: 1-line block ×4, first 2 shown]
	v_mov_b32_e32 v10, v7
	v_mad_co_u64_u32 v[7:8], null, s19, v16, v[4:5]
	v_mad_co_u64_u32 v[15:16], null, s18, v17, 0
	v_add_nc_u32_e32 v11, 0x438, v194
	s_delay_alu instid0(VALU_DEP_4) | instskip(SKIP_2) | instid1(VALU_DEP_4)
	v_lshlrev_b64_e32 v[0:1], 4, v[9:10]
	v_add_nc_u32_e32 v12, 0x4b0, v194
	v_mov_b32_e32 v14, v7
	v_mad_co_u64_u32 v[3:4], null, s18, v11, 0
	v_mov_b32_e32 v2, v16
	v_add_co_u32 v0, s1, v18, v0
	s_delay_alu instid0(VALU_DEP_4) | instskip(SKIP_4) | instid1(VALU_DEP_4)
	v_lshlrev_b64_e32 v[5:6], 4, v[13:14]
	s_wait_alu 0xf1ff
	v_add_co_ci_u32_e64 v1, s1, v20, v1, s1
	v_mad_co_u64_u32 v[7:8], null, s19, v17, v[2:3]
	v_mov_b32_e32 v2, v4
	v_add_co_u32 v4, s1, v18, v5
	v_mad_co_u64_u32 v[8:9], null, s18, v12, 0
	s_wait_alu 0xf1ff
	v_add_co_ci_u32_e64 v5, s1, v20, v6, s1
	v_mov_b32_e32 v16, v7
	v_mad_co_u64_u32 v[6:7], null, s19, v11, v[2:3]
	v_add_nc_u32_e32 v14, 0x528, v194
	v_mov_b32_e32 v2, v9
	s_clause 0x1
	global_load_b128 v[82:85], v[0:1], off
	global_load_b128 v[78:81], v[4:5], off
	v_lshlrev_b64_e32 v[0:1], 4, v[15:16]
	v_add_nc_u32_e32 v16, 0x690, v194
	v_mad_co_u64_u32 v[10:11], null, s18, v14, 0
	v_mov_b32_e32 v4, v6
	v_mad_co_u64_u32 v[12:13], null, s19, v12, v[2:3]
	v_add_co_u32 v0, s1, v18, v0
	s_delay_alu instid0(VALU_DEP_3) | instskip(SKIP_4) | instid1(VALU_DEP_3)
	v_lshlrev_b64_e32 v[3:4], 4, v[3:4]
	v_mov_b32_e32 v2, v11
	s_wait_alu 0xf1ff
	v_add_co_ci_u32_e64 v1, s1, v20, v1, s1
	v_dual_mov_b32 v9, v12 :: v_dual_add_nc_u32 v12, 0x5a0, v194
	v_mad_co_u64_u32 v[5:6], null, s19, v14, v[2:3]
	v_add_co_u32 v2, s1, v18, v3
	s_delay_alu instid0(VALU_DEP_3) | instskip(NEXT) | instid1(VALU_DEP_4)
	v_lshlrev_b64_e32 v[6:7], 4, v[8:9]
	v_mad_co_u64_u32 v[8:9], null, s18, v12, 0
	s_wait_alu 0xf1ff
	v_add_co_ci_u32_e64 v3, s1, v20, v4, s1
	v_mov_b32_e32 v11, v5
	s_clause 0x1
	global_load_b128 v[58:61], v[0:1], off
	global_load_b128 v[46:49], v[2:3], off
	v_add_nc_u32_e32 v14, 0x618, v194
	v_mov_b32_e32 v2, v9
	v_lshlrev_b64_e32 v[3:4], 4, v[10:11]
	v_add_co_u32 v0, s1, v18, v6
	s_wait_alu 0xf1ff
	v_add_co_ci_u32_e64 v1, s1, v20, v7, s1
	v_mad_co_u64_u32 v[10:11], null, s18, v16, 0
	s_delay_alu instid0(VALU_DEP_4)
	v_mad_co_u64_u32 v[5:6], null, s19, v12, v[2:3]
	v_mad_co_u64_u32 v[6:7], null, s18, v14, 0
	v_add_nc_u32_e32 v17, 0x708, v194
	v_add_co_u32 v2, s1, v18, v3
	s_wait_alu 0xf1ff
	v_add_co_ci_u32_e64 v3, s1, v20, v4, s1
	s_delay_alu instid0(VALU_DEP_4)
	v_dual_mov_b32 v9, v5 :: v_dual_mov_b32 v4, v7
	v_mov_b32_e32 v5, v11
	v_mad_co_u64_u32 v[12:13], null, s18, v17, 0
	s_clause 0x1
	global_load_b128 v[54:57], v[0:1], off
	global_load_b128 v[42:45], v[2:3], off
	v_lshlrev_b64_e32 v[1:2], 4, v[8:9]
	v_mad_co_u64_u32 v[14:15], null, s19, v14, v[4:5]
	v_mad_co_u64_u32 v[4:5], null, s19, v16, v[5:6]
	;; [unrolled: 1-line block ×3, first 2 shown]
	s_delay_alu instid0(VALU_DEP_3) | instskip(NEXT) | instid1(VALU_DEP_3)
	v_dual_mov_b32 v0, v13 :: v_dual_mov_b32 v7, v14
	v_mov_b32_e32 v11, v4
	s_delay_alu instid0(VALU_DEP_2) | instskip(NEXT) | instid1(VALU_DEP_4)
	v_mad_co_u64_u32 v[3:4], null, s19, v17, v[0:1]
	v_mov_b32_e32 v0, v16
	v_add_co_u32 v1, s1, v18, v1
	v_lshlrev_b64_e32 v[4:5], 4, v[6:7]
	s_wait_alu 0xf1ff
	v_add_co_ci_u32_e64 v2, s1, v20, v2, s1
	s_delay_alu instid0(VALU_DEP_3)
	v_mad_co_u64_u32 v[6:7], null, s19, v19, v[0:1]
	v_lshlrev_b64_e32 v[7:8], 4, v[10:11]
	v_mov_b32_e32 v13, v3
	v_add_co_u32 v3, s1, v18, v4
	s_wait_alu 0xf1ff
	v_add_co_ci_u32_e64 v4, s1, v20, v5, s1
	v_mov_b32_e32 v16, v6
	v_lshlrev_b64_e32 v[9:10], 4, v[12:13]
	v_add_co_u32 v5, s1, v18, v7
	s_wait_alu 0xf1ff
	v_add_co_ci_u32_e64 v6, s1, v20, v8, s1
	v_lshlrev_b64_e32 v[7:8], 4, v[15:16]
	s_delay_alu instid0(VALU_DEP_4) | instskip(SKIP_2) | instid1(VALU_DEP_3)
	v_add_co_u32 v9, s1, v18, v9
	s_wait_alu 0xf1ff
	v_add_co_ci_u32_e64 v10, s1, v20, v10, s1
	v_add_co_u32 v7, s1, v18, v7
	s_wait_alu 0xf1ff
	v_add_co_ci_u32_e64 v8, s1, v20, v8, s1
	s_clause 0x4
	global_load_b128 v[38:41], v[1:2], off
	global_load_b128 v[34:37], v[3:4], off
	global_load_b128 v[30:33], v[5:6], off
	global_load_b128 v[22:25], v[9:10], off
	global_load_b128 v[12:15], v[7:8], off
.LBB0_11:
	s_wait_alu 0xfffe
	s_or_b32 exec_lo, exec_lo, s6
	s_wait_loadcnt 0x0
	v_add_f64_e32 v[10:11], v[50:51], v[12:13]
	s_mov_b32 s6, 0x75d4884
	s_mov_b32 s8, 0x2b2883cd
	;; [unrolled: 1-line block ×10, first 2 shown]
	v_add_f64_e64 v[16:17], v[52:53], -v[14:15]
	v_add_f64_e32 v[18:19], v[62:63], v[22:23]
	s_mov_b32 s58, 0x2a9d6da3
	s_mov_b32 s42, 0x7c9e640b
	;; [unrolled: 1-line block ×16, first 2 shown]
	v_add_f64_e64 v[192:193], v[64:65], -v[24:25]
	v_add_f64_e32 v[162:163], v[30:31], v[74:75]
	s_mov_b32 s28, 0x6c9a05f6
	s_mov_b32 s36, 0xacd6c6b4
	;; [unrolled: 1-line block ×6, first 2 shown]
	v_add_f64_e64 v[190:191], v[76:77], -v[32:33]
	s_wait_alu 0xfffe
	v_mul_f64_e32 v[88:89], s[6:7], v[10:11]
	v_mul_f64_e32 v[90:91], s[8:9], v[10:11]
	;; [unrolled: 1-line block ×5, first 2 shown]
	v_add_f64_e32 v[138:139], v[34:35], v[70:71]
	s_mov_b32 s61, 0x3fc7851a
	s_mov_b32 s47, 0x3feec746
	s_mov_b32 s39, 0x3fe58eea
	s_mov_b32 s60, s36
	s_mov_b32 s46, s44
	s_mov_b32 s38, s58
	v_mul_f64_e32 v[176:177], s[12:13], v[18:19]
	v_mul_f64_e32 v[178:179], s[22:23], v[18:19]
	v_mul_f64_e32 v[180:181], s[24:25], v[18:19]
	v_mul_f64_e32 v[186:187], s[26:27], v[18:19]
	v_mul_f64_e32 v[184:185], s[6:7], v[18:19]
	v_add_f64_e64 v[182:183], v[72:73], -v[36:37]
	v_add_f64_e32 v[96:97], v[66:67], v[38:39]
	s_mov_b32 s41, 0x3fd71e95
	s_mov_b32 s40, s34
	v_add_f64_e64 v[172:173], v[68:69], -v[40:41]
	v_add_f64_e64 v[148:149], v[84:85], -v[44:45]
	s_mov_b32 s49, 0xbfe0d888
	s_mov_b32 s57, 0x3fefdd0d
	;; [unrolled: 1-line block ×4, first 2 shown]
	v_add_f64_e64 v[144:145], v[80:81], -v[56:57]
	s_mov_b32 s53, 0x3feca52d
	s_mov_b32 s55, 0x3fe9895b
	v_mul_f64_e32 v[164:165], s[22:23], v[162:163]
	v_mul_f64_e32 v[168:169], s[24:25], v[162:163]
	;; [unrolled: 1-line block ×5, first 2 shown]
	s_mov_b32 s52, s42
	s_mov_b32 s54, s28
	v_fma_f64 v[0:1], v[16:17], s[58:59], v[88:89]
	v_fma_f64 v[2:3], v[16:17], s[42:43], v[90:91]
	;; [unrolled: 1-line block ×5, first 2 shown]
	v_mul_f64_e32 v[152:153], s[24:25], v[138:139]
	v_mul_f64_e32 v[154:155], s[20:21], v[138:139]
	;; [unrolled: 1-line block ×5, first 2 shown]
	v_fma_f64 v[20:21], v[192:193], s[30:31], v[176:177]
	v_fma_f64 v[86:87], v[192:193], s[28:29], v[178:179]
	;; [unrolled: 1-line block ×5, first 2 shown]
	v_mul_f64_e32 v[130:131], s[26:27], v[96:97]
	v_mul_f64_e32 v[132:133], s[6:7], v[96:97]
	;; [unrolled: 1-line block ×5, first 2 shown]
	v_fma_f64 v[100:101], v[190:191], s[28:29], v[164:165]
	v_fma_f64 v[102:103], v[190:191], s[60:61], v[168:169]
	;; [unrolled: 1-line block ×3, first 2 shown]
	s_wait_alu 0xfffe
	v_fma_f64 v[106:107], v[190:191], s[38:39], v[174:175]
	v_fma_f64 v[108:109], v[190:191], s[42:43], v[166:167]
	v_add_f64_e32 v[0:1], v[0:1], v[26:27]
	v_add_f64_e32 v[2:3], v[2:3], v[26:27]
	v_add_f64_e32 v[4:5], v[4:5], v[26:27]
	v_add_f64_e32 v[6:7], v[6:7], v[26:27]
	v_add_f64_e32 v[8:9], v[8:9], v[26:27]
	v_fma_f64 v[114:115], v[182:183], s[42:43], v[160:161]
	v_fma_f64 v[116:117], v[182:183], s[30:31], v[158:159]
	;; [unrolled: 1-line block ×4, first 2 shown]
	v_add_f64_e32 v[0:1], v[20:21], v[0:1]
	v_add_f64_e32 v[2:3], v[86:87], v[2:3]
	;; [unrolled: 1-line block ×6, first 2 shown]
	v_fma_f64 v[20:21], v[182:183], s[36:37], v[152:153]
	v_fma_f64 v[94:95], v[182:183], s[46:47], v[154:155]
	v_fma_f64 v[98:99], v[182:183], s[40:41], v[156:157]
	v_add_f64_e32 v[86:87], v[54:55], v[78:79]
	v_add_f64_e32 v[0:1], v[100:101], v[0:1]
	;; [unrolled: 1-line block ×6, first 2 shown]
	v_mul_f64_e32 v[120:121], s[20:21], v[92:93]
	v_mul_f64_e32 v[122:123], s[18:19], v[92:93]
	;; [unrolled: 1-line block ×5, first 2 shown]
	v_fma_f64 v[100:101], v[172:173], s[50:51], v[130:131]
	v_fma_f64 v[104:105], v[172:173], s[38:39], v[132:133]
	;; [unrolled: 1-line block ×3, first 2 shown]
	v_mul_f64_e32 v[102:103], s[12:13], v[86:87]
	v_mul_f64_e32 v[108:109], s[22:23], v[86:87]
	;; [unrolled: 1-line block ×3, first 2 shown]
	v_add_f64_e32 v[0:1], v[20:21], v[0:1]
	v_add_f64_e32 v[2:3], v[94:95], v[2:3]
	;; [unrolled: 1-line block ×6, first 2 shown]
	v_mul_f64_e32 v[98:99], s[8:9], v[86:87]
	v_mul_f64_e32 v[116:117], s[26:27], v[86:87]
	v_fma_f64 v[197:198], v[148:149], s[46:47], v[120:121]
	v_fma_f64 v[199:200], v[148:149], s[34:35], v[122:123]
	v_fma_f64 v[201:202], v[148:149], s[48:49], v[124:125]
	v_fma_f64 v[203:204], v[148:149], s[56:57], v[128:129]
	v_fma_f64 v[205:206], v[148:149], s[28:29], v[126:127]
	v_fma_f64 v[207:208], v[144:145], s[30:31], v[102:103]
	v_fma_f64 v[209:210], v[144:145], s[54:55], v[108:109]
	v_fma_f64 v[211:212], v[144:145], s[34:35], v[118:119]
	v_add_f64_e32 v[0:1], v[100:101], v[0:1]
	v_add_f64_e32 v[2:3], v[104:105], v[2:3]
	;; [unrolled: 1-line block ×5, first 2 shown]
	v_add_f64_e64 v[142:143], v[60:61], -v[48:49]
	v_mul_f64_e32 v[94:95], s[18:19], v[20:21]
	v_mul_f64_e32 v[100:101], s[26:27], v[20:21]
	;; [unrolled: 1-line block ×5, first 2 shown]
	v_fma_f64 v[195:196], v[144:145], s[52:53], v[98:99]
	v_fma_f64 v[213:214], v[144:145], s[48:49], v[116:117]
	v_add_f64_e32 v[0:1], v[197:198], v[0:1]
	v_add_f64_e32 v[2:3], v[199:200], v[2:3]
	;; [unrolled: 1-line block ×5, first 2 shown]
	v_fma_f64 v[197:198], v[142:143], s[40:41], v[94:95]
	v_fma_f64 v[199:200], v[142:143], s[48:49], v[100:101]
	;; [unrolled: 1-line block ×5, first 2 shown]
	v_add_f64_e32 v[0:1], v[195:196], v[0:1]
	v_add_f64_e32 v[195:196], v[207:208], v[2:3]
	;; [unrolled: 1-line block ×10, first 2 shown]
	s_and_saveexec_b32 s1, s0
	s_cbranch_execz .LBB0_13
; %bb.12:
	v_add_f64_e32 v[195:196], v[50:51], v[26:27]
	v_mul_f64_e32 v[197:198], s[36:37], v[16:17]
	v_mul_f64_e32 v[203:204], s[44:45], v[16:17]
	;; [unrolled: 1-line block ×16, first 2 shown]
	v_add_f64_e32 v[195:196], v[62:63], v[195:196]
	v_fma_f64 v[225:226], v[10:11], s[24:25], v[197:198]
	v_add_f64_e64 v[150:151], v[150:151], -v[203:204]
	v_add_f64_e64 v[146:147], v[146:147], -v[205:206]
	v_fma_f64 v[197:198], v[10:11], s[24:25], -v[197:198]
	v_fma_f64 v[227:228], v[10:11], s[26:27], v[199:200]
	v_fma_f64 v[199:200], v[10:11], s[26:27], -v[199:200]
	v_fma_f64 v[229:230], v[10:11], s[22:23], v[201:202]
	v_fma_f64 v[10:11], v[10:11], s[22:23], -v[201:202]
	v_add_f64_e64 v[90:91], v[90:91], -v[207:208]
	v_add_f64_e64 v[16:17], v[88:89], -v[16:17]
	;; [unrolled: 1-line block ×3, first 2 shown]
	v_mul_f64_e32 v[201:202], s[30:31], v[190:191]
	v_mul_f64_e32 v[203:204], s[34:35], v[190:191]
	;; [unrolled: 1-line block ×5, first 2 shown]
	v_fma_f64 v[231:232], v[18:19], s[18:19], v[211:212]
	v_fma_f64 v[211:212], v[18:19], s[18:19], -v[211:212]
	v_fma_f64 v[233:234], v[18:19], s[8:9], v[213:214]
	v_fma_f64 v[213:214], v[18:19], s[8:9], -v[213:214]
	;; [unrolled: 2-line block ×3, first 2 shown]
	v_mul_f64_e32 v[215:216], s[28:29], v[190:191]
	v_add_f64_e64 v[186:187], v[186:187], -v[217:218]
	v_add_f64_e64 v[180:181], v[180:181], -v[219:220]
	;; [unrolled: 1-line block ×5, first 2 shown]
	v_mul_f64_e32 v[221:222], s[54:55], v[182:183]
	v_add_f64_e32 v[195:196], v[74:75], v[195:196]
	v_add_f64_e32 v[192:193], v[225:226], v[26:27]
	v_add_f64_e32 v[150:151], v[150:151], v[26:27]
	v_add_f64_e32 v[146:147], v[146:147], v[26:27]
	v_add_f64_e32 v[197:198], v[197:198], v[26:27]
	v_add_f64_e32 v[217:218], v[227:228], v[26:27]
	v_add_f64_e32 v[199:200], v[199:200], v[26:27]
	v_add_f64_e32 v[219:220], v[229:230], v[26:27]
	v_add_f64_e32 v[10:11], v[10:11], v[26:27]
	v_add_f64_e32 v[90:91], v[90:91], v[26:27]
	v_add_f64_e32 v[16:17], v[16:17], v[26:27]
	v_add_f64_e32 v[188:189], v[188:189], v[26:27]
	v_fma_f64 v[225:226], v[162:163], s[12:13], v[201:202]
	v_fma_f64 v[201:202], v[162:163], s[12:13], -v[201:202]
	v_fma_f64 v[227:228], v[162:163], s[18:19], v[203:204]
	v_add_f64_e64 v[174:175], v[174:175], -v[205:206]
	v_mul_f64_e32 v[205:206], s[42:43], v[182:183]
	v_add_f64_e64 v[170:171], v[170:171], -v[207:208]
	v_mul_f64_e32 v[207:208], s[40:41], v[182:183]
	;; [unrolled: 2-line block ×4, first 2 shown]
	v_add_f64_e32 v[195:196], v[70:71], v[195:196]
	v_add_f64_e32 v[150:151], v[186:187], v[150:151]
	;; [unrolled: 1-line block ×3, first 2 shown]
	v_mul_f64_e32 v[180:181], s[56:57], v[172:173]
	v_mul_f64_e32 v[186:187], s[42:43], v[172:173]
	v_add_f64_e32 v[199:200], v[213:214], v[199:200]
	v_mul_f64_e32 v[213:214], s[50:51], v[172:173]
	v_add_f64_e32 v[10:11], v[18:19], v[10:11]
	v_add_f64_e32 v[18:19], v[178:179], v[90:91]
	v_add_f64_e32 v[16:17], v[176:177], v[16:17]
	v_add_f64_e32 v[90:91], v[184:185], v[188:189]
	v_mul_f64_e32 v[176:177], s[28:29], v[172:173]
	v_mul_f64_e32 v[178:179], s[34:35], v[172:173]
	;; [unrolled: 1-line block ×5, first 2 shown]
	v_add_f64_e64 v[160:161], v[160:161], -v[205:206]
	v_add_f64_e64 v[156:157], v[156:157], -v[207:208]
	;; [unrolled: 1-line block ×4, first 2 shown]
	v_add_f64_e32 v[195:196], v[66:67], v[195:196]
	v_add_f64_e32 v[150:151], v[174:175], v[150:151]
	v_add_f64_e32 v[146:147], v[170:171], v[146:147]
	v_mul_f64_e32 v[170:171], s[56:57], v[148:149]
	v_mul_f64_e32 v[174:175], s[48:49], v[148:149]
	v_add_f64_e64 v[134:135], v[134:135], -v[186:187]
	v_fma_f64 v[205:206], v[96:97], s[12:13], v[180:181]
	v_add_f64_e64 v[130:131], v[130:131], -v[213:214]
	v_add_f64_e32 v[18:19], v[168:169], v[18:19]
	v_add_f64_e32 v[16:17], v[164:165], v[16:17]
	v_mul_f64_e32 v[164:165], s[52:53], v[148:149]
	v_mul_f64_e32 v[168:169], s[58:59], v[148:149]
	;; [unrolled: 1-line block ×3, first 2 shown]
	v_add_f64_e64 v[140:141], v[140:141], -v[184:185]
	v_add_f64_e64 v[132:133], v[132:133], -v[188:189]
	;; [unrolled: 1-line block ×3, first 2 shown]
	v_add_f64_e32 v[195:196], v[82:83], v[195:196]
	v_add_f64_e32 v[150:151], v[160:161], v[150:151]
	;; [unrolled: 1-line block ×3, first 2 shown]
	v_mul_f64_e32 v[156:157], s[54:55], v[144:145]
	v_mul_f64_e32 v[160:161], s[44:45], v[144:145]
	v_add_f64_e64 v[128:129], v[128:129], -v[170:171]
	v_add_f64_e64 v[124:125], v[124:125], -v[174:175]
	v_add_f64_e32 v[18:19], v[154:155], v[18:19]
	v_add_f64_e32 v[16:17], v[152:153], v[16:17]
	v_fma_f64 v[188:189], v[92:93], s[8:9], v[164:165]
	v_mul_f64_e32 v[152:153], s[52:53], v[144:145]
	v_mul_f64_e32 v[154:155], s[30:31], v[144:145]
	v_fma_f64 v[164:165], v[92:93], s[8:9], -v[164:165]
	v_add_f64_e32 v[195:196], v[78:79], v[195:196]
	v_add_f64_e32 v[140:141], v[140:141], v[150:151]
	;; [unrolled: 1-line block ×3, first 2 shown]
	v_mul_f64_e32 v[146:147], s[28:29], v[142:143]
	v_mul_f64_e32 v[150:151], s[56:57], v[142:143]
	v_fma_f64 v[174:175], v[86:87], s[20:21], v[160:161]
	v_add_f64_e64 v[108:109], v[108:109], -v[156:157]
	v_fma_f64 v[160:161], v[86:87], s[20:21], -v[160:161]
	v_add_f64_e32 v[18:19], v[132:133], v[18:19]
	v_add_f64_e32 v[16:17], v[130:131], v[16:17]
	v_mul_f64_e32 v[130:131], s[40:41], v[142:143]
	v_mul_f64_e32 v[132:133], s[48:49], v[142:143]
	v_add_f64_e64 v[98:99], v[98:99], -v[152:153]
	v_add_f64_e64 v[102:103], v[102:103], -v[154:155]
	v_add_f64_e32 v[88:89], v[58:59], v[195:196]
	v_mul_f64_e32 v[195:196], s[48:49], v[190:191]
	v_mul_f64_e32 v[190:191], s[42:43], v[190:191]
	v_add_f64_e32 v[128:129], v[128:129], v[140:141]
	v_add_f64_e32 v[124:125], v[124:125], v[134:135]
	v_add_f64_e64 v[114:115], v[114:115], -v[146:147]
	v_add_f64_e64 v[94:95], v[94:95], -v[130:131]
	;; [unrolled: 1-line block ×3, first 2 shown]
	v_add_f64_e32 v[26:27], v[46:47], v[88:89]
	v_mul_f64_e32 v[88:89], s[38:39], v[182:183]
	v_fma_f64 v[223:224], v[162:163], s[26:27], v[195:196]
	v_fma_f64 v[195:196], v[162:163], s[26:27], -v[195:196]
	v_fma_f64 v[162:163], v[162:163], s[18:19], -v[203:204]
	v_mul_f64_e32 v[203:204], s[48:49], v[182:183]
	v_mul_f64_e32 v[182:183], s[30:31], v[182:183]
	v_add_f64_e64 v[166:167], v[166:167], -v[190:191]
	v_add_f64_e32 v[190:191], v[231:232], v[192:193]
	v_add_f64_e32 v[192:193], v[211:212], v[197:198]
	;; [unrolled: 1-line block ×4, first 2 shown]
	v_fma_f64 v[219:220], v[138:139], s[22:23], v[221:222]
	v_fma_f64 v[221:222], v[138:139], s[22:23], -v[221:222]
	v_add_f64_e32 v[108:109], v[108:109], v[124:125]
	v_add_f64_e32 v[26:27], v[54:55], v[26:27]
	v_fma_f64 v[217:218], v[138:139], s[6:7], v[88:89]
	v_fma_f64 v[88:89], v[138:139], s[6:7], -v[88:89]
	v_add_f64_e32 v[10:11], v[162:163], v[10:11]
	v_fma_f64 v[229:230], v[138:139], s[26:27], v[203:204]
	v_add_f64_e64 v[158:159], v[158:159], -v[182:183]
	v_fma_f64 v[138:139], v[138:139], s[26:27], -v[203:204]
	v_add_f64_e32 v[182:183], v[223:224], v[190:191]
	v_add_f64_e32 v[190:191], v[195:196], v[192:193]
	;; [unrolled: 1-line block ×6, first 2 shown]
	v_mul_f64_e32 v[162:163], s[34:35], v[148:149]
	v_mul_f64_e32 v[166:167], s[36:37], v[148:149]
	;; [unrolled: 1-line block ×4, first 2 shown]
	v_fma_f64 v[201:202], v[96:97], s[22:23], v[176:177]
	v_fma_f64 v[176:177], v[96:97], s[22:23], -v[176:177]
	v_fma_f64 v[203:204], v[96:97], s[18:19], v[178:179]
	v_fma_f64 v[178:179], v[96:97], s[18:19], -v[178:179]
	v_fma_f64 v[96:97], v[96:97], s[12:13], -v[180:181]
	v_add_f64_e32 v[26:27], v[42:43], v[26:27]
	v_add_f64_e32 v[10:11], v[138:139], v[10:11]
	;; [unrolled: 1-line block ×8, first 2 shown]
	v_mul_f64_e32 v[138:139], s[48:49], v[144:145]
	v_mul_f64_e32 v[158:159], s[34:35], v[144:145]
	;; [unrolled: 1-line block ×3, first 2 shown]
	v_add_f64_e64 v[126:127], v[126:127], -v[148:149]
	v_fma_f64 v[190:191], v[92:93], s[24:25], v[166:167]
	v_fma_f64 v[166:167], v[92:93], s[24:25], -v[166:167]
	v_fma_f64 v[192:193], v[92:93], s[6:7], v[168:169]
	v_fma_f64 v[92:93], v[92:93], s[6:7], -v[168:169]
	v_add_f64_e64 v[122:123], v[122:123], -v[162:163]
	v_add_f64_e64 v[120:121], v[120:121], -v[199:200]
	v_add_f64_e32 v[26:27], v[38:39], v[26:27]
	v_add_f64_e32 v[10:11], v[96:97], v[10:11]
	;; [unrolled: 1-line block ×8, first 2 shown]
	v_mul_f64_e32 v[96:97], s[36:37], v[142:143]
	v_mul_f64_e32 v[136:137], s[38:39], v[142:143]
	v_add_f64_e64 v[118:119], v[118:119], -v[158:159]
	v_add_f64_e64 v[116:117], v[116:117], -v[138:139]
	v_mul_f64_e32 v[172:173], s[44:45], v[142:143]
	v_mul_f64_e32 v[142:143], s[52:53], v[142:143]
	v_fma_f64 v[176:177], v[86:87], s[6:7], v[186:187]
	v_fma_f64 v[178:179], v[86:87], s[6:7], -v[186:187]
	v_fma_f64 v[180:181], v[86:87], s[24:25], v[144:145]
	v_fma_f64 v[86:87], v[86:87], s[24:25], -v[144:145]
	v_add_f64_e32 v[18:19], v[122:123], v[18:19]
	v_add_f64_e32 v[16:17], v[120:121], v[16:17]
	v_fma_f64 v[120:121], v[20:21], s[12:13], -v[150:151]
	v_add_f64_e32 v[26:27], v[34:35], v[26:27]
	v_add_f64_e32 v[10:11], v[92:93], v[10:11]
	;; [unrolled: 1-line block ×8, first 2 shown]
	v_fma_f64 v[92:93], v[20:21], s[12:13], v[150:151]
	v_add_f64_e64 v[104:105], v[104:105], -v[136:137]
	v_add_f64_e64 v[96:97], v[106:107], -v[96:97]
	v_add_f64_e32 v[118:119], v[118:119], v[128:129]
	v_fma_f64 v[122:123], v[20:21], s[20:21], v[172:173]
	v_fma_f64 v[126:127], v[20:21], s[20:21], -v[172:173]
	v_fma_f64 v[134:135], v[20:21], s[8:9], v[142:143]
	v_fma_f64 v[20:21], v[20:21], s[8:9], -v[142:143]
	v_add_f64_e32 v[18:19], v[102:103], v[18:19]
	v_add_f64_e32 v[16:17], v[98:99], v[16:17]
	;; [unrolled: 1-line block ×22, first 2 shown]
	v_mad_u32_u24 v86, 0x88, v194, 0
	v_add_f64_e32 v[26:27], v[12:13], v[26:27]
	ds_store_2addr_b64 v86, v[4:5], v[6:7] offset0:12 offset1:13
	ds_store_2addr_b64 v86, v[0:1], v[2:3] offset0:14 offset1:15
	;; [unrolled: 1-line block ×7, first 2 shown]
	ds_store_2addr_b64 v86, v[26:27], v[20:21] offset1:1
	ds_store_b64 v86, v[8:9] offset:128
.LBB0_13:
	s_wait_alu 0xfffe
	s_or_b32 exec_lo, exec_lo, s1
	v_add_f64_e64 v[192:193], v[50:51], -v[12:13]
	v_add_f64_e64 v[186:187], v[62:63], -v[22:23]
	v_add_f64_e32 v[178:179], v[52:53], v[14:15]
	v_add_f64_e64 v[166:167], v[74:75], -v[30:31]
	v_add_f64_e32 v[164:165], v[64:65], v[24:25]
	v_add_f64_e32 v[150:151], v[32:33], v[76:77]
	v_add_f64_e64 v[162:163], v[70:71], -v[34:35]
	v_add_f64_e32 v[124:125], v[36:37], v[72:73]
	v_add_f64_e64 v[148:149], v[66:67], -v[38:39]
	;; [unrolled: 2-line block ×3, first 2 shown]
	v_add_f64_e64 v[122:123], v[78:79], -v[54:55]
	v_lshl_add_u32 v195, v194, 3, 0
	global_wb scope:SCOPE_SE
	s_wait_dscnt 0x0
	s_barrier_signal -1
	s_barrier_wait -1
	global_inv scope:SCOPE_SE
	v_add_nc_u32_e32 v196, 0x800, v195
	v_add_nc_u32_e32 v197, 0x1e00, v195
	;; [unrolled: 1-line block ×5, first 2 shown]
	s_add_nc_u64 s[2:3], s[14:15], s[2:3]
	v_mul_f64_e32 v[182:183], s[34:35], v[192:193]
	v_mul_f64_e32 v[184:185], s[58:59], v[192:193]
	;; [unrolled: 1-line block ×31, first 2 shown]
	v_fma_f64 v[10:11], v[178:179], s[18:19], -v[182:183]
	v_fma_f64 v[12:13], v[178:179], s[6:7], -v[184:185]
	;; [unrolled: 1-line block ×19, first 2 shown]
	v_add_f64_e32 v[10:11], v[10:11], v[28:29]
	v_add_f64_e32 v[12:13], v[12:13], v[28:29]
	;; [unrolled: 1-line block ×10, first 2 shown]
	v_fma_f64 v[22:23], v[124:125], s[12:13], -v[138:139]
	v_fma_f64 v[26:27], v[124:125], s[24:25], -v[140:141]
	;; [unrolled: 1-line block ×4, first 2 shown]
	v_mul_f64_e32 v[50:51], s[52:53], v[122:123]
	v_add_f64_e32 v[10:11], v[38:39], v[10:11]
	v_add_f64_e32 v[12:13], v[62:63], v[12:13]
	;; [unrolled: 1-line block ×6, first 2 shown]
	v_fma_f64 v[38:39], v[114:115], s[20:21], -v[126:127]
	v_fma_f64 v[70:71], v[114:115], s[26:27], -v[128:129]
	v_add_f64_e64 v[66:67], v[58:59], -v[46:47]
	v_mul_f64_e32 v[46:47], s[48:49], v[122:123]
	v_mul_f64_e32 v[58:59], s[54:55], v[122:123]
	;; [unrolled: 1-line block ×3, first 2 shown]
	v_add_f64_e32 v[22:23], v[22:23], v[10:11]
	v_add_f64_e32 v[12:13], v[26:27], v[12:13]
	;; [unrolled: 1-line block ×6, first 2 shown]
	v_fma_f64 v[92:93], v[74:75], s[22:23], -v[78:79]
	v_fma_f64 v[94:95], v[74:75], s[20:21], -v[82:83]
	;; [unrolled: 1-line block ×5, first 2 shown]
	v_add_f64_e32 v[26:27], v[48:49], v[60:61]
	v_mul_f64_e32 v[30:31], s[36:37], v[66:67]
	v_mul_f64_e32 v[34:35], s[40:41], v[66:67]
	;; [unrolled: 1-line block ×3, first 2 shown]
	v_add_f64_e32 v[22:23], v[38:39], v[22:23]
	v_add_f64_e32 v[12:13], v[70:71], v[12:13]
	;; [unrolled: 1-line block ×5, first 2 shown]
	v_mul_f64_e32 v[38:39], s[48:49], v[66:67]
	v_mul_f64_e32 v[70:71], s[28:29], v[66:67]
	v_fma_f64 v[86:87], v[10:11], s[26:27], -v[46:47]
	v_fma_f64 v[88:89], v[10:11], s[8:9], -v[50:51]
	;; [unrolled: 1-line block ×5, first 2 shown]
	v_add_f64_e32 v[22:23], v[92:93], v[22:23]
	v_add_f64_e32 v[12:13], v[94:95], v[12:13]
	;; [unrolled: 1-line block ×5, first 2 shown]
	v_fma_f64 v[92:93], v[26:27], s[24:25], -v[30:31]
	v_fma_f64 v[94:95], v[26:27], s[18:19], -v[34:35]
	;; [unrolled: 1-line block ×5, first 2 shown]
	v_add_f64_e32 v[22:23], v[86:87], v[22:23]
	v_add_f64_e32 v[86:87], v[88:89], v[12:13]
	;; [unrolled: 1-line block ×10, first 2 shown]
	ds_load_2addr_b64 v[86:89], v195 offset1:170
	ds_load_2addr_b64 v[90:93], v196 offset0:84 offset1:254
	ds_load_2addr_b64 v[106:109], v197 offset0:60 offset1:230
	;; [unrolled: 1-line block ×5, first 2 shown]
	global_wb scope:SCOPE_SE
	s_wait_dscnt 0x0
	s_barrier_signal -1
	s_barrier_wait -1
	global_inv scope:SCOPE_SE
	s_and_saveexec_b32 s33, s0
	s_cbranch_execz .LBB0_15
; %bb.14:
	v_add_f64_e32 v[52:53], v[52:53], v[28:29]
	s_mov_b32 s44, 0x6c9a05f6
	s_mov_b32 s50, 0x4363dd80
	;; [unrolled: 1-line block ×5, first 2 shown]
	s_wait_alu 0xfffe
	v_mul_f64_e32 v[201:202], s[50:51], v[192:193]
	s_mov_b32 s46, 0x910ea3b9
	s_mov_b32 s34, 0x7c9e640b
	;; [unrolled: 1-line block ×8, first 2 shown]
	v_mul_f64_e32 v[203:204], s[6:7], v[164:165]
	v_mul_f64_e32 v[205:206], s[12:13], v[164:165]
	;; [unrolled: 1-line block ×4, first 2 shown]
	s_mov_b32 s53, 0x3fd71e95
	s_mov_b32 s52, 0x5d8e7cdc
	;; [unrolled: 1-line block ×3, first 2 shown]
	v_mul_f64_e32 v[207:208], s[22:23], v[164:165]
	s_wait_alu 0xfffe
	v_mul_f64_e32 v[217:218], s[0:1], v[186:187]
	v_mul_f64_e32 v[219:220], s[34:35], v[186:187]
	;; [unrolled: 1-line block ×3, first 2 shown]
	s_mov_b32 s14, 0xc61f0d01
	s_mov_b32 s28, 0x2b2883cd
	;; [unrolled: 1-line block ×8, first 2 shown]
	v_mul_f64_e32 v[213:214], s[8:9], v[150:151]
	v_mul_f64_e32 v[215:216], s[22:23], v[150:151]
	s_mov_b32 s49, 0x3fedd6d0
	v_mul_f64_e32 v[221:222], s[50:51], v[166:167]
	v_add_f64_e32 v[52:53], v[64:65], v[52:53]
	v_mul_f64_e32 v[64:65], s[18:19], v[178:179]
	s_mov_b32 s40, 0x3259b75e
	s_mov_b32 s54, 0x2a9d6da3
	;; [unrolled: 1-line block ×6, first 2 shown]
	v_mul_f64_e32 v[223:224], s[50:51], v[162:163]
	s_wait_alu 0xfffe
	v_mul_f64_e32 v[225:226], s[54:55], v[162:163]
	v_mul_f64_e32 v[162:163], s[56:57], v[162:163]
	s_mov_b32 s50, 0x75d4884
	s_mov_b32 s51, 0x3fe7a5f6
	;; [unrolled: 1-line block ×3, first 2 shown]
	v_add_f64_e32 v[168:169], v[203:204], v[168:169]
	v_add_f64_e32 v[170:171], v[205:206], v[170:171]
	;; [unrolled: 1-line block ×5, first 2 shown]
	v_fma_f64 v[203:204], v[164:165], s[14:15], v[217:218]
	v_fma_f64 v[205:206], v[164:165], s[14:15], -v[217:218]
	v_fma_f64 v[207:208], v[164:165], s[28:29], v[219:220]
	v_fma_f64 v[209:210], v[164:165], s[28:29], -v[219:220]
	;; [unrolled: 2-line block ×3, first 2 shown]
	v_mul_f64_e32 v[217:218], s[18:19], v[124:125]
	v_mul_f64_e32 v[219:220], s[8:9], v[124:125]
	v_add_f64_e32 v[152:153], v[213:214], v[152:153]
	v_add_f64_e32 v[154:155], v[215:216], v[154:155]
	;; [unrolled: 1-line block ×3, first 2 shown]
	v_mul_f64_e32 v[76:77], s[20:21], v[178:179]
	v_add_f64_e32 v[64:65], v[64:65], v[182:183]
	s_delay_alu instid0(VALU_DEP_3) | instskip(SKIP_1) | instid1(VALU_DEP_4)
	v_add_f64_e32 v[52:53], v[72:73], v[52:53]
	v_mul_f64_e32 v[72:73], s[12:13], v[178:179]
	v_add_f64_e32 v[76:77], v[76:77], v[190:191]
	s_delay_alu instid0(VALU_DEP_4) | instskip(NEXT) | instid1(VALU_DEP_4)
	v_add_f64_e32 v[64:65], v[64:65], v[28:29]
	v_add_f64_e32 v[52:53], v[68:69], v[52:53]
	v_mul_f64_e32 v[68:69], s[6:7], v[178:179]
	v_add_f64_e32 v[72:73], v[72:73], v[188:189]
	v_add_f64_e32 v[76:77], v[76:77], v[28:29]
	;; [unrolled: 1-line block ×4, first 2 shown]
	v_mul_f64_e32 v[84:85], s[44:45], v[192:193]
	v_mul_f64_e32 v[192:193], s[36:37], v[192:193]
	v_add_f64_e32 v[68:69], v[68:69], v[184:185]
	v_fma_f64 v[184:185], v[178:179], s[46:47], v[201:202]
	v_add_f64_e32 v[72:73], v[72:73], v[28:29]
	v_add_f64_e32 v[76:77], v[176:177], v[76:77]
	v_mul_f64_e32 v[176:177], s[6:7], v[114:115]
	v_add_f64_e32 v[64:65], v[152:153], v[64:65]
	v_add_f64_e32 v[52:53], v[80:81], v[52:53]
	v_mul_f64_e32 v[80:81], s[8:9], v[178:179]
	v_fma_f64 v[182:183], v[178:179], s[42:43], v[84:85]
	v_fma_f64 v[84:85], v[178:179], s[42:43], -v[84:85]
	v_fma_f64 v[188:189], v[178:179], s[30:31], v[192:193]
	v_fma_f64 v[190:191], v[178:179], s[30:31], -v[192:193]
	v_fma_f64 v[178:179], v[178:179], s[46:47], -v[201:202]
	v_mul_f64_e32 v[192:193], s[6:7], v[150:151]
	v_add_f64_e32 v[68:69], v[68:69], v[28:29]
	v_mul_f64_e32 v[201:202], s[38:39], v[166:167]
	v_mul_f64_e32 v[166:167], s[52:53], v[166:167]
	v_add_f64_e32 v[184:185], v[184:185], v[28:29]
	v_add_f64_e32 v[72:73], v[174:175], v[72:73]
	s_mov_b32 s39, 0x3fefdd0d
	v_add_f64_e32 v[52:53], v[60:61], v[52:53]
	v_add_f64_e32 v[60:61], v[80:81], v[180:181]
	v_mul_f64_e32 v[80:81], s[24:25], v[150:151]
	v_mul_f64_e32 v[180:181], s[20:21], v[150:151]
	v_add_f64_e32 v[182:183], v[182:183], v[28:29]
	v_add_f64_e32 v[84:85], v[84:85], v[28:29]
	;; [unrolled: 1-line block ×5, first 2 shown]
	v_mul_f64_e32 v[190:191], s[20:21], v[124:125]
	v_add_f64_e32 v[68:69], v[170:171], v[68:69]
	v_fma_f64 v[213:214], v[150:151], s[48:49], v[166:167]
	v_add_f64_e32 v[168:169], v[207:208], v[184:185]
	v_mul_f64_e32 v[184:185], s[44:45], v[148:149]
	v_add_f64_e32 v[48:49], v[48:49], v[52:53]
	v_add_f64_e32 v[28:29], v[60:61], v[28:29]
	v_mul_f64_e32 v[52:53], s[12:13], v[124:125]
	v_mul_f64_e32 v[60:61], s[24:25], v[124:125]
	v_add_f64_e32 v[80:81], v[80:81], v[156:157]
	v_add_f64_e32 v[156:157], v[180:181], v[158:159]
	;; [unrolled: 1-line block ×3, first 2 shown]
	v_fma_f64 v[160:161], v[150:151], s[40:41], v[201:202]
	v_fma_f64 v[180:181], v[150:151], s[40:41], -v[201:202]
	v_fma_f64 v[192:193], v[150:151], s[46:47], v[221:222]
	v_fma_f64 v[201:202], v[150:151], s[46:47], -v[221:222]
	v_fma_f64 v[150:151], v[150:151], s[48:49], -v[166:167]
	v_add_f64_e32 v[166:167], v[203:204], v[182:183]
	v_add_f64_e32 v[84:85], v[205:206], v[84:85]
	;; [unrolled: 1-line block ×5, first 2 shown]
	v_mul_f64_e32 v[178:179], s[8:9], v[114:115]
	v_mul_f64_e32 v[182:183], s[24:25], v[114:115]
	v_add_f64_e32 v[68:69], v[154:155], v[68:69]
	s_wait_alu 0xfffe
	v_mul_f64_e32 v[186:187], s[38:39], v[148:149]
	v_mul_f64_e32 v[148:149], s[52:53], v[148:149]
	v_fma_f64 v[203:204], v[124:125], s[42:43], v[162:163]
	v_fma_f64 v[188:189], v[124:125], s[50:51], v[225:226]
	v_add_f64_e32 v[48:49], v[56:57], v[48:49]
	v_add_f64_e32 v[28:29], v[172:173], v[28:29]
	v_mul_f64_e32 v[56:57], s[20:21], v[114:115]
	v_mul_f64_e32 v[172:173], s[26:27], v[114:115]
	v_add_f64_e32 v[52:53], v[52:53], v[138:139]
	v_add_f64_e32 v[60:61], v[60:61], v[140:141]
	;; [unrolled: 1-line block ×7, first 2 shown]
	v_fma_f64 v[144:145], v[124:125], s[46:47], v[223:224]
	v_fma_f64 v[146:147], v[124:125], s[46:47], -v[223:224]
	v_add_f64_e32 v[152:153], v[213:214], v[166:167]
	v_add_f64_e32 v[84:85], v[150:151], v[84:85]
	;; [unrolled: 1-line block ×3, first 2 shown]
	v_fma_f64 v[190:191], v[124:125], s[50:51], -v[225:226]
	v_add_f64_e32 v[154:155], v[192:193], v[170:171]
	v_add_f64_e32 v[156:157], v[201:202], v[164:165]
	v_fma_f64 v[124:125], v[124:125], s[42:43], -v[162:163]
	v_add_f64_e32 v[158:159], v[180:181], v[174:175]
	v_mul_f64_e32 v[160:161], s[18:19], v[74:75]
	v_mul_f64_e32 v[162:163], s[26:27], v[74:75]
	;; [unrolled: 1-line block ×5, first 2 shown]
	v_fma_f64 v[174:175], v[114:115], s[40:41], -v[186:187]
	v_fma_f64 v[170:171], v[114:115], s[42:43], -v[184:185]
	v_add_f64_e32 v[44:45], v[44:45], v[48:49]
	v_add_f64_e32 v[28:29], v[80:81], v[28:29]
	v_mul_f64_e32 v[80:81], s[20:21], v[74:75]
	s_mov_b32 s21, 0xbfe58eea
	s_mov_b32 s20, s54
	v_mul_f64_e32 v[48:49], s[22:23], v[74:75]
	v_add_f64_e32 v[56:57], v[56:57], v[126:127]
	v_add_f64_e32 v[126:127], v[172:173], v[128:129]
	;; [unrolled: 1-line block ×9, first 2 shown]
	s_wait_alu 0xfffe
	v_mul_f64_e32 v[136:137], s[20:21], v[136:137]
	v_fma_f64 v[172:173], v[114:115], s[40:41], v[186:187]
	v_fma_f64 v[176:177], v[114:115], s[48:49], v[148:149]
	v_add_f64_e32 v[72:73], v[144:145], v[152:153]
	v_add_f64_e32 v[76:77], v[146:147], v[84:85]
	;; [unrolled: 1-line block ×3, first 2 shown]
	v_fma_f64 v[134:135], v[114:115], s[42:43], v[184:185]
	v_add_f64_e32 v[140:141], v[188:189], v[154:155]
	v_add_f64_e32 v[142:143], v[190:191], v[156:157]
	v_fma_f64 v[114:115], v[114:115], s[48:49], -v[148:149]
	v_add_f64_e32 v[124:125], v[124:125], v[158:159]
	v_mul_f64_e32 v[144:145], s[12:13], v[10:11]
	v_mul_f64_e32 v[146:147], s[22:23], v[10:11]
	;; [unrolled: 1-line block ×5, first 2 shown]
	v_fma_f64 v[154:155], v[74:75], s[28:29], v[168:169]
	v_fma_f64 v[156:157], v[74:75], s[28:29], -v[168:169]
	v_mul_f64_e32 v[122:123], s[0:1], v[122:123]
	v_add_f64_e32 v[40:41], v[40:41], v[44:45]
	v_add_f64_e32 v[28:29], v[138:139], v[28:29]
	v_mul_f64_e32 v[44:45], s[26:27], v[10:11]
	v_mul_f64_e32 v[138:139], s[8:9], v[10:11]
	v_add_f64_e32 v[48:49], v[48:49], v[78:79]
	v_add_f64_e32 v[78:79], v[80:81], v[82:83]
	;; [unrolled: 1-line block ×5, first 2 shown]
	v_fma_f64 v[118:119], v[74:75], s[30:31], v[166:167]
	v_add_f64_e32 v[52:53], v[56:57], v[52:53]
	v_add_f64_e32 v[56:57], v[126:127], v[60:61]
	;; [unrolled: 1-line block ×4, first 2 shown]
	v_fma_f64 v[120:121], v[74:75], s[30:31], -v[166:167]
	v_fma_f64 v[158:159], v[74:75], s[50:51], v[136:137]
	v_fma_f64 v[74:75], v[74:75], s[50:51], -v[136:137]
	v_add_f64_e32 v[68:69], v[172:173], v[72:73]
	v_add_f64_e32 v[72:73], v[174:175], v[76:77]
	v_add_f64_e32 v[76:77], v[176:177], v[84:85]
	v_mul_f64_e32 v[130:131], s[6:7], v[26:27]
	v_add_f64_e32 v[84:85], v[134:135], v[140:141]
	v_add_f64_e32 v[126:127], v[170:171], v[142:143]
	v_mul_f64_e32 v[132:133], s[22:23], v[26:27]
	v_add_f64_e32 v[114:115], v[114:115], v[124:125]
	v_mul_f64_e32 v[124:125], s[18:19], v[26:27]
	v_mul_f64_e32 v[134:135], s[34:35], v[66:67]
	;; [unrolled: 1-line block ×4, first 2 shown]
	v_fma_f64 v[140:141], v[10:11], s[50:51], v[152:153]
	v_fma_f64 v[142:143], v[10:11], s[50:51], -v[152:153]
	v_add_f64_e32 v[36:37], v[36:37], v[40:41]
	v_add_f64_e32 v[28:29], v[128:129], v[28:29]
	v_mul_f64_e32 v[40:41], s[24:25], v[26:27]
	v_mul_f64_e32 v[128:129], s[26:27], v[26:27]
	v_add_f64_e32 v[44:45], v[44:45], v[46:47]
	v_add_f64_e32 v[46:47], v[138:139], v[50:51]
	;; [unrolled: 1-line block ×5, first 2 shown]
	v_fma_f64 v[62:63], v[10:11], s[30:31], v[150:151]
	v_fma_f64 v[138:139], v[10:11], s[30:31], -v[150:151]
	v_add_f64_e32 v[48:49], v[48:49], v[52:53]
	v_add_f64_e32 v[52:53], v[78:79], v[56:57]
	;; [unrolled: 1-line block ×4, first 2 shown]
	v_fma_f64 v[144:145], v[10:11], s[14:15], v[122:123]
	v_fma_f64 v[10:11], v[10:11], s[14:15], -v[122:123]
	v_add_f64_e32 v[64:65], v[158:159], v[68:69]
	v_add_f64_e32 v[68:69], v[74:75], v[72:73]
	;; [unrolled: 1-line block ×7, first 2 shown]
	v_fma_f64 v[82:83], v[26:27], s[14:15], -v[136:137]
	v_fma_f64 v[84:85], v[26:27], s[40:41], v[66:67]
	v_add_f64_e32 v[32:33], v[32:33], v[36:37]
	v_add_f64_e32 v[28:29], v[80:81], v[28:29]
	;; [unrolled: 1-line block ×6, first 2 shown]
	v_fma_f64 v[42:43], v[26:27], s[28:29], v[134:135]
	v_fma_f64 v[80:81], v[26:27], s[14:15], v[136:137]
	v_fma_f64 v[70:71], v[26:27], s[28:29], -v[134:135]
	v_fma_f64 v[26:27], v[26:27], s[40:41], -v[66:67]
	v_add_f64_e32 v[44:45], v[44:45], v[48:49]
	v_add_f64_e32 v[46:47], v[46:47], v[52:53]
	;; [unrolled: 1-line block ×24, first 2 shown]
	v_lshl_add_u32 v28, v194, 7, v195
	ds_store_2addr_b64 v28, v[20:21], v[22:23] offset0:12 offset1:13
	ds_store_2addr_b64 v28, v[16:17], v[18:19] offset0:14 offset1:15
	;; [unrolled: 1-line block ×6, first 2 shown]
	ds_store_2addr_b64 v28, v[14:15], v[30:31] offset1:1
	ds_store_2addr_b64 v28, v[32:33], v[24:25] offset0:2 offset1:3
	ds_store_b64 v28, v[12:13] offset:128
.LBB0_15:
	s_or_b32 exec_lo, exec_lo, s33
	v_add_nc_u32_e32 v114, 0xaa, v194
	v_and_b32_e32 v123, 0xff, v194
	v_add_nc_u32_e32 v124, 0x154, v194
	s_load_b64 s[2:3], s[2:3], 0x0
	global_wb scope:SCOPE_SE
	s_wait_dscnt 0x0
	v_and_b32_e32 v10, 0xffff, v114
	v_mul_lo_u16 v11, 0xf1, v123
	v_and_b32_e32 v14, 0xffff, v124
	s_wait_kmcnt 0x0
	s_barrier_signal -1
	s_barrier_wait -1
	v_mul_u32_u24_e32 v125, 0xf0f1, v10
	v_lshrrev_b16 v126, 12, v11
	v_mul_u32_u24_e32 v127, 0xf0f1, v14
	global_inv scope:SCOPE_SE
	s_mov_b32 s6, 0xe8584caa
	v_lshrrev_b32_e32 v128, 20, v125
	v_mul_lo_u16 v10, v126, 17
	v_lshrrev_b32_e32 v129, 20, v127
	v_lshrrev_b32_e32 v125, 22, v125
	s_mov_b32 s7, 0x3febb67a
	v_mul_lo_u16 v11, v128, 17
	v_sub_nc_u16 v10, v194, v10
	v_mul_lo_u16 v14, v129, 17
	s_mov_b32 s9, 0xbfebb67a
	s_wait_alu 0xfffe
	s_mov_b32 s8, s6
	v_sub_nc_u16 v11, v114, v11
	v_and_b32_e32 v130, 0xff, v10
	v_sub_nc_u16 v10, v124, v14
	v_cmp_gt_u32_e64 s0, 34, v194
	s_delay_alu instid0(VALU_DEP_4) | instskip(NEXT) | instid1(VALU_DEP_4)
	v_and_b32_e32 v131, 0xffff, v11
	v_mul_u32_u24_e32 v11, 3, v130
	s_delay_alu instid0(VALU_DEP_4) | instskip(NEXT) | instid1(VALU_DEP_3)
	v_and_b32_e32 v132, 0xffff, v10
	v_mul_u32_u24_e32 v10, 3, v131
	s_delay_alu instid0(VALU_DEP_3) | instskip(NEXT) | instid1(VALU_DEP_3)
	v_lshlrev_b32_e32 v11, 4, v11
	v_mul_u32_u24_e32 v14, 3, v132
	s_clause 0x1
	global_load_b128 v[24:27], v11, s[4:5] offset:16
	global_load_b128 v[28:31], v11, s[4:5]
	v_lshlrev_b32_e32 v10, 4, v10
	v_lshlrev_b32_e32 v14, 4, v14
	s_clause 0x6
	global_load_b128 v[32:35], v11, s[4:5] offset:32
	global_load_b128 v[36:39], v10, s[4:5]
	global_load_b128 v[40:43], v10, s[4:5] offset:16
	global_load_b128 v[44:47], v10, s[4:5] offset:32
	global_load_b128 v[48:51], v14, s[4:5]
	global_load_b128 v[52:55], v14, s[4:5] offset:16
	global_load_b128 v[56:59], v14, s[4:5] offset:32
	ds_load_2addr_b64 v[60:63], v196 offset0:84 offset1:254
	ds_load_2addr_b64 v[64:67], v197 offset0:60 offset1:230
	;; [unrolled: 1-line block ×5, first 2 shown]
	s_wait_loadcnt_dscnt 0x602
	v_mul_f64_e32 v[80:81], v[70:71], v[34:35]
	v_mul_f64_e32 v[10:11], v[62:63], v[30:31]
	;; [unrolled: 1-line block ×6, first 2 shown]
	s_wait_loadcnt_dscnt 0x501
	v_mul_f64_e32 v[82:83], v[72:73], v[38:39]
	s_wait_loadcnt 0x4
	v_mul_f64_e32 v[84:85], v[66:67], v[42:43]
	s_wait_loadcnt_dscnt 0x300
	v_mul_f64_e32 v[115:116], v[76:77], v[46:47]
	s_wait_loadcnt 0x2
	v_mul_f64_e32 v[117:118], v[74:75], v[50:51]
	s_wait_loadcnt 0x1
	;; [unrolled: 2-line block ×3, first 2 shown]
	v_mul_f64_e32 v[121:122], v[78:79], v[58:59]
	v_mul_f64_e32 v[38:39], v[102:103], v[38:39]
	;; [unrolled: 1-line block ×7, first 2 shown]
	v_fma_f64 v[80:81], v[96:97], v[32:33], -v[80:81]
	v_fma_f64 v[10:11], v[92:93], v[28:29], -v[10:11]
	;; [unrolled: 1-line block ×3, first 2 shown]
	v_fma_f64 v[28:29], v[62:63], v[28:29], v[30:31]
	v_fma_f64 v[30:31], v[64:65], v[24:25], v[26:27]
	;; [unrolled: 1-line block ×3, first 2 shown]
	v_fma_f64 v[82:83], v[102:103], v[36:37], -v[82:83]
	v_fma_f64 v[84:85], v[108:109], v[40:41], -v[84:85]
	;; [unrolled: 1-line block ×6, first 2 shown]
	v_fma_f64 v[34:35], v[72:73], v[36:37], v[38:39]
	v_fma_f64 v[36:37], v[66:67], v[40:41], v[42:43]
	;; [unrolled: 1-line block ×6, first 2 shown]
	ds_load_2addr_b64 v[24:27], v195 offset1:170
	v_add_nc_u32_e32 v76, 0x1fe, v194
	v_mul_lo_u16 v77, 0x79, v123
	global_wb scope:SCOPE_SE
	s_wait_dscnt 0x0
	s_barrier_signal -1
	s_barrier_wait -1
	global_inv scope:SCOPE_SE
	v_lshrrev_b16 v123, 13, v77
	v_and_b32_e32 v77, 0xffff, v126
	v_lshrrev_b32_e32 v126, 22, v127
	s_delay_alu instid0(VALU_DEP_3) | instskip(NEXT) | instid1(VALU_DEP_3)
	v_mul_lo_u16 v78, 0x44, v123
	v_mul_u32_u24_e32 v79, 0x220, v77
	v_add_f64_e64 v[46:47], v[10:11], -v[80:81]
	v_add_f64_e64 v[14:15], v[86:87], -v[14:15]
	v_mul_u32_u24_e32 v80, 0x220, v128
	v_add_f64_e64 v[30:31], v[24:25], -v[30:31]
	v_add_f64_e64 v[32:33], v[28:29], -v[32:33]
	;; [unrolled: 1-line block ×10, first 2 shown]
	v_fma_f64 v[10:11], v[10:11], 2.0, -v[46:47]
	v_fma_f64 v[56:57], v[86:87], 2.0, -v[14:15]
	;; [unrolled: 1-line block ×4, first 2 shown]
	v_add_f64_e32 v[46:47], v[30:31], v[46:47]
	v_fma_f64 v[58:59], v[88:89], 2.0, -v[48:49]
	v_fma_f64 v[62:63], v[82:83], 2.0, -v[50:51]
	v_add_f64_e64 v[32:33], v[14:15], -v[32:33]
	v_fma_f64 v[64:65], v[90:91], 2.0, -v[52:53]
	v_fma_f64 v[66:67], v[96:97], 2.0, -v[54:55]
	v_lshlrev_b32_e32 v83, 3, v130
	v_fma_f64 v[26:27], v[26:27], 2.0, -v[36:37]
	v_fma_f64 v[34:35], v[34:35], 2.0, -v[38:39]
	v_add_f64_e64 v[38:39], v[48:49], -v[38:39]
	v_fma_f64 v[60:61], v[60:61], 2.0, -v[42:43]
	v_fma_f64 v[40:41], v[40:41], 2.0, -v[44:45]
	v_add_f64_e64 v[44:45], v[52:53], -v[44:45]
	v_add_f64_e32 v[70:71], v[36:37], v[50:51]
	v_add_f64_e32 v[54:55], v[42:43], v[54:55]
	v_add3_u32 v79, 0, v79, v83
	v_add_f64_e64 v[10:11], v[56:57], -v[10:11]
	v_add_f64_e64 v[68:69], v[24:25], -v[28:29]
	v_and_b32_e32 v28, 0xffff, v76
	v_add_f64_e64 v[62:63], v[58:59], -v[62:63]
	v_fma_f64 v[14:15], v[14:15], 2.0, -v[32:33]
	v_add_f64_e64 v[66:67], v[64:65], -v[66:67]
	s_delay_alu instid0(VALU_DEP_4) | instskip(SKIP_2) | instid1(VALU_DEP_3)
	v_mul_u32_u24_e32 v28, 0xf0f1, v28
	v_add_f64_e64 v[72:73], v[26:27], -v[34:35]
	v_add_f64_e64 v[74:75], v[60:61], -v[40:41]
	v_lshrrev_b32_e32 v127, 22, v28
	v_fma_f64 v[40:41], v[52:53], 2.0, -v[44:45]
	v_sub_nc_u16 v52, v194, v78
	v_mul_lo_u16 v53, 0x44, v125
	v_fma_f64 v[28:29], v[48:49], 2.0, -v[38:39]
	v_mul_u32_u24_e32 v78, 0x220, v129
	s_delay_alu instid0(VALU_DEP_4) | instskip(NEXT) | instid1(VALU_DEP_4)
	v_and_b32_e32 v128, 0xff, v52
	v_sub_nc_u16 v52, v114, v53
	s_delay_alu instid0(VALU_DEP_2) | instskip(SKIP_3) | instid1(VALU_DEP_2)
	v_lshlrev_b32_e32 v84, 5, v128
	v_fma_f64 v[34:35], v[56:57], 2.0, -v[10:11]
	v_mul_lo_u16 v56, 0x44, v126
	v_mul_lo_u16 v57, 0x44, v127
	v_sub_nc_u16 v81, v124, v56
	s_delay_alu instid0(VALU_DEP_2)
	v_sub_nc_u16 v82, v76, v57
	v_and_b32_e32 v124, 0xffff, v52
	v_fma_f64 v[52:53], v[30:31], 2.0, -v[46:47]
	v_fma_f64 v[56:57], v[24:25], 2.0, -v[68:69]
	;; [unrolled: 1-line block ×8, first 2 shown]
	v_lshlrev_b32_e32 v24, 3, v131
	v_lshlrev_b32_e32 v25, 3, v132
	v_and_b32_e32 v129, 0xffff, v81
	v_and_b32_e32 v130, 0xffff, v82
	v_lshlrev_b32_e32 v81, 5, v124
	v_add3_u32 v80, 0, v80, v24
	v_add3_u32 v78, 0, v78, v25
	v_lshlrev_b32_e32 v82, 5, v129
	ds_store_2addr_b64 v79, v[10:11], v[32:33] offset0:34 offset1:51
	ds_store_2addr_b64 v79, v[34:35], v[14:15] offset1:17
	ds_store_2addr_b64 v80, v[62:63], v[38:39] offset0:34 offset1:51
	ds_store_2addr_b64 v80, v[48:49], v[28:29] offset1:17
	ds_store_2addr_b64 v78, v[50:51], v[40:41] offset1:17
	ds_store_2addr_b64 v78, v[66:67], v[44:45] offset0:34 offset1:51
	global_wb scope:SCOPE_SE
	s_wait_dscnt 0x0
	s_barrier_signal -1
	s_barrier_wait -1
	global_inv scope:SCOPE_SE
	ds_load_2addr_b64 v[24:27], v195 offset1:170
	ds_load_2addr_b64 v[28:31], v200 offset0:40 offset1:210
	ds_load_2addr_b64 v[32:35], v198 offset0:80 offset1:250
	;; [unrolled: 1-line block ×5, first 2 shown]
	global_wb scope:SCOPE_SE
	s_wait_dscnt 0x0
	s_barrier_signal -1
	s_barrier_wait -1
	global_inv scope:SCOPE_SE
	ds_store_2addr_b64 v79, v[56:57], v[52:53] offset1:17
	ds_store_2addr_b64 v79, v[68:69], v[46:47] offset0:34 offset1:51
	ds_store_2addr_b64 v80, v[64:65], v[58:59] offset1:17
	ds_store_2addr_b64 v80, v[72:73], v[70:71] offset0:34 offset1:51
	;; [unrolled: 2-line block ×3, first 2 shown]
	global_wb scope:SCOPE_SE
	s_wait_dscnt 0x0
	s_barrier_signal -1
	s_barrier_wait -1
	global_inv scope:SCOPE_SE
	s_clause 0x1
	global_load_b128 v[44:47], v84, s[4:5] offset:832
	global_load_b128 v[52:55], v84, s[4:5] offset:816
	v_lshlrev_b32_e32 v10, 5, v130
	s_clause 0x5
	global_load_b128 v[56:59], v81, s[4:5] offset:816
	global_load_b128 v[60:63], v81, s[4:5] offset:832
	;; [unrolled: 1-line block ×6, first 2 shown]
	ds_load_2addr_b64 v[82:85], v200 offset0:40 offset1:210
	ds_load_2addr_b64 v[98:101], v198 offset0:80 offset1:250
	;; [unrolled: 1-line block ×4, first 2 shown]
	s_wait_loadcnt_dscnt 0x503
	v_mul_f64_e32 v[64:65], v[84:85], v[58:59]
	s_wait_loadcnt_dscnt 0x402
	v_mul_f64_e32 v[66:67], v[100:101], v[62:63]
	v_mul_f64_e32 v[14:15], v[98:99], v[46:47]
	;; [unrolled: 1-line block ×3, first 2 shown]
	s_wait_loadcnt_dscnt 0x301
	v_mul_f64_e32 v[70:71], v[102:103], v[80:81]
	s_wait_loadcnt_dscnt 0x200
	v_mul_f64_e32 v[72:73], v[106:107], v[88:89]
	s_wait_loadcnt 0x1
	v_mul_f64_e32 v[115:116], v[104:105], v[92:93]
	s_wait_loadcnt 0x0
	v_mul_f64_e32 v[117:118], v[108:109], v[96:97]
	v_mul_f64_e32 v[54:55], v[28:29], v[54:55]
	;; [unrolled: 1-line block ×9, first 2 shown]
	v_fma_f64 v[46:47], v[30:31], v[56:57], -v[64:65]
	v_fma_f64 v[68:69], v[34:35], v[60:61], -v[66:67]
	;; [unrolled: 1-line block ×8, first 2 shown]
	v_fma_f64 v[80:81], v[82:83], v[52:53], v[54:55]
	v_fma_f64 v[44:45], v[98:99], v[44:45], v[119:120]
	;; [unrolled: 1-line block ×8, first 2 shown]
	v_add_nc_u32_e32 v90, 0xc00, v195
	v_add_nc_u32_e32 v91, 0x1800, v195
	;; [unrolled: 1-line block ×4, first 2 shown]
	v_add_f64_e32 v[42:43], v[26:27], v[46:47]
	v_add_f64_e32 v[28:29], v[46:47], v[68:69]
	;; [unrolled: 1-line block ×8, first 2 shown]
	v_add_f64_e64 v[40:41], v[80:81], -v[44:45]
	v_add_f64_e32 v[42:43], v[42:43], v[68:69]
	v_fma_f64 v[26:27], v[28:29], -0.5, v[26:27]
	v_add_f64_e64 v[28:29], v[84:85], -v[78:79]
	v_fma_f64 v[10:11], v[10:11], -0.5, v[24:25]
	v_add_f64_e64 v[24:25], v[82:83], -v[70:71]
	;; [unrolled: 2-line block ×3, first 2 shown]
	v_fma_f64 v[32:33], v[32:33], -0.5, v[38:39]
	v_add_f64_e32 v[34:35], v[34:35], v[76:77]
	v_add_f64_e32 v[48:49], v[48:49], v[72:73]
	;; [unrolled: 1-line block ×3, first 2 shown]
	v_fma_f64 v[52:53], v[40:41], s[6:7], v[10:11]
	s_wait_alu 0xfffe
	v_fma_f64 v[10:11], v[40:41], s[8:9], v[10:11]
	v_fma_f64 v[40:41], v[24:25], s[6:7], v[26:27]
	;; [unrolled: 1-line block ×7, first 2 shown]
	v_and_b32_e32 v28, 0xffff, v123
	v_lshlrev_b32_e32 v32, 3, v128
	v_mul_u32_u24_e32 v29, 0x660, v125
	v_lshlrev_b32_e32 v33, 3, v124
	v_mul_u32_u24_e32 v30, 0x660, v126
	v_mul_u32_u24_e32 v28, 0x660, v28
	v_lshlrev_b32_e32 v36, 3, v129
	v_mul_u32_u24_e32 v31, 0x660, v127
	v_lshlrev_b32_e32 v37, 3, v130
	v_add3_u32 v96, 0, v29, v33
	v_add3_u32 v97, 0, v28, v32
	;; [unrolled: 1-line block ×3, first 2 shown]
	s_delay_alu instid0(VALU_DEP_4)
	v_add3_u32 v94, 0, v31, v37
	ds_load_2addr_b64 v[36:39], v195 offset1:170
	ds_load_2addr_b64 v[28:31], v196 offset0:84 offset1:254
	global_wb scope:SCOPE_SE
	s_wait_dscnt 0x0
	s_barrier_signal -1
	s_barrier_wait -1
	global_inv scope:SCOPE_SE
	ds_store_2addr_b64 v97, v[34:35], v[52:53] offset1:68
	ds_store_b64 v97, v[10:11] offset:1088
	ds_store_2addr_b64 v96, v[42:43], v[40:41] offset1:68
	ds_store_b64 v96, v[54:55] offset:1088
	ds_store_2addr_b64 v95, v[48:49], v[56:57] offset1:68
	ds_store_b64 v95, v[58:59] offset:1088
	ds_store_2addr_b64 v94, v[50:51], v[24:25] offset1:68
	ds_store_b64 v94, v[26:27] offset:1088
	global_wb scope:SCOPE_SE
	s_wait_dscnt 0x0
	s_barrier_signal -1
	s_barrier_wait -1
	global_inv scope:SCOPE_SE
	ds_load_2addr_b64 v[40:43], v195 offset1:204
	ds_load_2addr_b64 v[48:51], v90 offset0:24 offset1:228
	ds_load_2addr_b64 v[56:59], v91 offset0:48 offset1:252
	;; [unrolled: 1-line block ×4, first 2 shown]
                                        ; implicit-def: $vgpr34_vgpr35
	s_and_saveexec_b32 s1, s0
	s_cbranch_execz .LBB0_17
; %bb.16:
	v_add_nc_u32_e32 v0, 0x400, v195
	v_add_nc_u32_e32 v1, 0x1200, v195
	;; [unrolled: 1-line block ×5, first 2 shown]
	ds_load_2addr_b64 v[24:27], v0 offset0:42 offset1:246
	ds_load_2addr_b64 v[4:7], v1 offset0:2 offset1:206
	;; [unrolled: 1-line block ×5, first 2 shown]
.LBB0_17:
	s_wait_alu 0xfffe
	s_or_b32 exec_lo, exec_lo, s1
	v_add_f64_e32 v[98:99], v[80:81], v[44:45]
	v_add_f64_e32 v[100:101], v[82:83], v[70:71]
	v_add_f64_e32 v[102:103], v[84:85], v[78:79]
	v_add_f64_e32 v[104:105], v[88:89], v[86:87]
	v_add_f64_e32 v[80:81], v[36:37], v[80:81]
	v_add_f64_e64 v[74:75], v[74:75], -v[76:77]
	v_add_f64_e32 v[76:77], v[38:39], v[82:83]
	v_add_f64_e64 v[46:47], v[46:47], -v[68:69]
	v_add_f64_e32 v[82:83], v[28:29], v[84:85]
	;; [unrolled: 2-line block ×3, first 2 shown]
	v_add_f64_e64 v[14:15], v[14:15], -v[66:67]
	global_wb scope:SCOPE_SE
	s_wait_dscnt 0x0
	s_barrier_signal -1
	s_barrier_wait -1
	global_inv scope:SCOPE_SE
	v_fma_f64 v[36:37], v[98:99], -0.5, v[36:37]
	v_fma_f64 v[38:39], v[100:101], -0.5, v[38:39]
	;; [unrolled: 1-line block ×4, first 2 shown]
	v_add_f64_e32 v[44:45], v[80:81], v[44:45]
	v_add_f64_e32 v[66:67], v[76:77], v[70:71]
	;; [unrolled: 1-line block ×4, first 2 shown]
	v_fma_f64 v[72:73], v[74:75], s[8:9], v[36:37]
	v_fma_f64 v[36:37], v[74:75], s[6:7], v[36:37]
	;; [unrolled: 1-line block ×8, first 2 shown]
	ds_store_2addr_b64 v97, v[44:45], v[72:73] offset1:68
	ds_store_b64 v97, v[36:37] offset:1088
	ds_store_2addr_b64 v96, v[66:67], v[74:75] offset1:68
	ds_store_b64 v96, v[38:39] offset:1088
	;; [unrolled: 2-line block ×4, first 2 shown]
	global_wb scope:SCOPE_SE
	s_wait_dscnt 0x0
	s_barrier_signal -1
	s_barrier_wait -1
	global_inv scope:SCOPE_SE
	ds_load_2addr_b64 v[44:47], v195 offset1:204
	ds_load_2addr_b64 v[64:67], v90 offset0:24 offset1:228
	ds_load_2addr_b64 v[68:71], v91 offset0:48 offset1:252
	;; [unrolled: 1-line block ×4, first 2 shown]
                                        ; implicit-def: $vgpr38_vgpr39
	s_and_saveexec_b32 s1, s0
	s_cbranch_execz .LBB0_19
; %bb.18:
	v_add_nc_u32_e32 v12, 0x400, v195
	v_add_nc_u32_e32 v13, 0x1200, v195
	;; [unrolled: 1-line block ×5, first 2 shown]
	ds_load_2addr_b64 v[28:31], v12 offset0:42 offset1:246
	ds_load_2addr_b64 v[20:23], v13 offset0:2 offset1:206
	ds_load_2addr_b64 v[16:19], v14 offset0:26 offset1:230
	ds_load_2addr_b64 v[12:15], v15 offset0:50 offset1:254
	ds_load_2addr_b64 v[36:39], v36 offset0:10 offset1:214
.LBB0_19:
	s_wait_alu 0xfffe
	s_or_b32 exec_lo, exec_lo, s1
	s_and_saveexec_b32 s1, vcc_lo
	s_cbranch_execz .LBB0_22
; %bb.20:
	v_mul_u32_u24_e32 v80, 9, v194
	s_mov_b32 s12, 0x134454ff
	s_mov_b32 s13, 0x3fee6f0e
	;; [unrolled: 1-line block ×3, first 2 shown]
	s_wait_alu 0xfffe
	s_mov_b32 s6, s12
	v_lshlrev_b32_e32 v108, 4, v80
	v_mul_lo_u32 v151, s3, v112
	v_mul_lo_u32 v152, s2, v113
	s_mov_b32 s14, 0x4755a5e
	s_mov_b32 s15, 0x3fe2cf23
	s_clause 0x8
	global_load_b128 v[80:83], v108, s[4:5] offset:3024
	global_load_b128 v[84:87], v108, s[4:5] offset:3120
	;; [unrolled: 1-line block ×9, first 2 shown]
	s_mov_b32 s9, 0xbfe2cf23
	s_wait_alu 0xfffe
	s_mov_b32 s8, s14
	v_add_nc_u32_e32 v169, 0x4c8, v194
	s_mov_b32 s18, 0x9b97f4a8
	s_mov_b32 s19, 0x3fe9e377
	v_add_nc_u32_e32 v165, 0x198, v194
	v_add_nc_u32_e32 v167, 0x330, v194
	v_mad_co_u64_u32 v[145:146], null, s16, v169, 0
	v_add_nc_u32_e32 v171, 0x660, v194
	s_delay_alu instid0(VALU_DEP_1)
	v_mad_co_u64_u32 v[149:150], null, s16, v171, 0
	s_wait_loadcnt_dscnt 0x803
	v_mul_f64_e32 v[108:109], v[66:67], v[82:83]
	s_wait_loadcnt_dscnt 0x700
	v_mul_f64_e32 v[123:124], v[78:79], v[86:87]
	s_wait_loadcnt 0x6
	v_mul_f64_e32 v[125:126], v[58:59], v[90:91]
	s_wait_loadcnt 0x5
	v_mul_f64_e32 v[127:128], v[62:63], v[94:95]
	v_mul_f64_e32 v[90:91], v[70:71], v[90:91]
	v_mul_f64_e32 v[94:95], v[74:75], v[94:95]
	v_mul_f64_e32 v[82:83], v[50:51], v[82:83]
	v_mul_f64_e32 v[86:87], v[54:55], v[86:87]
	s_wait_loadcnt 0x4
	v_mul_f64_e32 v[129:130], v[46:47], v[98:99]
	v_mul_f64_e32 v[98:99], v[42:43], v[98:99]
	v_fma_f64 v[50:51], v[50:51], v[80:81], -v[108:109]
	v_fma_f64 v[54:55], v[54:55], v[84:85], -v[123:124]
	v_fma_f64 v[70:71], v[70:71], v[88:89], v[125:126]
	v_fma_f64 v[74:75], v[74:75], v[92:93], v[127:128]
	v_fma_f64 v[58:59], v[58:59], v[88:89], -v[90:91]
	v_fma_f64 v[62:63], v[62:63], v[92:93], -v[94:95]
	v_fma_f64 v[66:67], v[66:67], v[80:81], v[82:83]
	v_fma_f64 v[78:79], v[78:79], v[84:85], v[86:87]
	s_wait_loadcnt 0x3
	v_mul_f64_e32 v[80:81], v[48:49], v[102:103]
	s_wait_loadcnt 0x2
	v_mul_f64_e32 v[82:83], v[56:57], v[106:107]
	;; [unrolled: 2-line block ×4, first 2 shown]
	v_mul_f64_e32 v[88:89], v[68:69], v[106:107]
	v_mul_f64_e32 v[90:91], v[72:73], v[117:118]
	;; [unrolled: 1-line block ×3, first 2 shown]
	v_fma_f64 v[42:43], v[42:43], v[96:97], -v[129:130]
	v_fma_f64 v[46:47], v[46:47], v[96:97], v[98:99]
	v_mul_f64_e32 v[92:93], v[64:65], v[102:103]
	v_mad_co_u64_u32 v[108:109], null, s2, v112, 0
	s_mov_b32 s2, 0x372fe950
	s_mov_b32 s3, 0x3fd3c6ef
	s_delay_alu instid0(VALU_DEP_1) | instskip(NEXT) | instid1(VALU_DEP_1)
	v_add3_u32 v109, v109, v152, v151
	v_lshlrev_b64_e32 v[108:109], 4, v[108:109]
	v_add_f64_e32 v[98:99], v[50:51], v[54:55]
	v_add_f64_e32 v[96:97], v[70:71], v[74:75]
	v_add_f64_e64 v[121:122], v[58:59], -v[50:51]
	v_add_f64_e32 v[106:107], v[58:59], v[62:63]
	v_add_f64_e64 v[123:124], v[62:63], -v[54:55]
	v_add_f64_e32 v[102:103], v[66:67], v[78:79]
	v_fma_f64 v[64:65], v[64:65], v[100:101], v[80:81]
	v_fma_f64 v[68:69], v[68:69], v[104:105], v[82:83]
	v_fma_f64 v[72:73], v[72:73], v[115:116], v[84:85]
	v_fma_f64 v[76:77], v[76:77], v[119:120], v[86:87]
	v_fma_f64 v[56:57], v[56:57], v[104:105], -v[88:89]
	v_fma_f64 v[60:61], v[60:61], v[115:116], -v[90:91]
	;; [unrolled: 1-line block ×3, first 2 shown]
	v_add_f64_e64 v[94:95], v[66:67], -v[78:79]
	v_add_f64_e64 v[80:81], v[70:71], -v[74:75]
	;; [unrolled: 1-line block ×4, first 2 shown]
	v_fma_f64 v[48:49], v[48:49], v[100:101], -v[92:93]
	v_add_f64_e64 v[115:116], v[66:67], -v[70:71]
	v_add_f64_e64 v[117:118], v[78:79], -v[74:75]
	;; [unrolled: 1-line block ×6, first 2 shown]
	v_mad_co_u64_u32 v[92:93], null, s16, v194, 0
	v_fma_f64 v[88:89], v[98:99], -0.5, v[42:43]
	v_lshlrev_b64_e32 v[98:99], 4, v[110:111]
	v_fma_f64 v[86:87], v[96:97], -0.5, v[46:47]
	v_fma_f64 v[96:97], v[106:107], -0.5, v[42:43]
	v_add_f64_e32 v[42:43], v[50:51], v[42:43]
	v_fma_f64 v[90:91], v[102:103], -0.5, v[46:47]
	v_add_f64_e32 v[158:159], v[44:45], v[64:65]
	v_add_f64_e32 v[46:47], v[66:67], v[46:47]
	;; [unrolled: 1-line block ×4, first 2 shown]
	v_add_f64_e64 v[66:67], v[64:65], -v[76:77]
	v_add_f64_e32 v[129:130], v[56:57], v[60:61]
	v_add_f64_e64 v[160:161], v[68:69], -v[72:73]
	v_mad_co_u64_u32 v[153:154], null, s17, v194, v[93:94]
	v_add_nc_u32_e32 v172, 0x72c, v194
	v_add_f64_e64 v[154:155], v[56:57], -v[60:61]
	v_add_f64_e32 v[131:132], v[48:49], v[52:53]
	v_add_f64_e32 v[162:163], v[40:41], v[48:49]
	v_add_f64_e64 v[156:157], v[48:49], -v[52:53]
	v_mad_co_u64_u32 v[151:152], null, s16, v172, 0
	v_add_nc_u32_e32 v170, 0x594, v194
	v_mad_co_u64_u32 v[102:103], null, s16, v165, 0
	v_mad_co_u64_u32 v[106:107], null, s16, v167, 0
	v_fma_f64 v[137:138], v[80:81], s[6:7], v[88:89]
	v_fma_f64 v[88:89], v[80:81], s[12:13], v[88:89]
	;; [unrolled: 1-line block ×8, first 2 shown]
	v_add_f64_e32 v[46:47], v[70:71], v[46:47]
	v_fma_f64 v[50:51], v[112:113], -0.5, v[44:45]
	v_fma_f64 v[44:45], v[119:120], -0.5, v[44:45]
	v_add_f64_e32 v[112:113], v[115:116], v[117:118]
	v_fma_f64 v[119:120], v[129:130], -0.5, v[40:41]
	v_add_f64_e32 v[115:116], v[121:122], v[123:124]
	v_add_f64_e32 v[117:118], v[125:126], v[127:128]
	;; [unrolled: 1-line block ×4, first 2 shown]
	v_add_f64_e64 v[140:141], v[52:53], -v[60:61]
	v_fma_f64 v[40:41], v[131:132], -0.5, v[40:41]
	v_fma_f64 v[125:126], v[94:95], s[14:15], v[137:138]
	v_add_f64_e64 v[138:139], v[48:49], -v[56:57]
	v_fma_f64 v[121:122], v[82:83], s[14:15], v[133:134]
	s_wait_alu 0xfffe
	v_fma_f64 v[82:83], v[82:83], s[8:9], v[86:87]
	v_fma_f64 v[129:130], v[80:81], s[14:15], v[143:144]
	v_fma_f64 v[80:81], v[80:81], s[8:9], v[96:97]
	v_mov_b32_e32 v97, v152
	v_mad_co_u64_u32 v[147:148], null, s16, v170, 0
	v_fma_f64 v[123:124], v[84:85], s[14:15], v[135:136]
	v_fma_f64 v[84:85], v[84:85], s[8:9], v[90:91]
	v_add_nc_u32_e32 v168, 0x3fc, v194
	v_fma_f64 v[86:87], v[94:95], s[8:9], v[88:89]
	v_mov_b32_e32 v94, v146
	v_add_f64_e64 v[48:49], v[56:57], -v[48:49]
	v_mov_b32_e32 v95, v148
	v_mad_co_u64_u32 v[110:111], null, s16, v168, 0
	v_add_nc_u32_e32 v166, 0x264, v194
	v_add_f64_e32 v[56:57], v[162:163], v[56:57]
	v_add_f64_e64 v[134:135], v[76:77], -v[72:73]
	v_add_f64_e64 v[136:137], v[72:73], -v[76:77]
	v_fma_f64 v[58:59], v[156:157], s[12:13], v[50:51]
	v_fma_f64 v[70:71], v[154:155], s[6:7], v[44:45]
	v_mov_b32_e32 v91, v111
	v_mad_co_u64_u32 v[104:105], null, s16, v166, 0
	v_add_nc_u32_e32 v164, 0xcc, v194
	v_fma_f64 v[44:45], v[154:155], s[12:13], v[44:45]
	v_fma_f64 v[50:51], v[156:157], s[6:7], v[50:51]
	v_add_f64_e64 v[142:143], v[60:61], -v[52:53]
	v_fma_f64 v[162:163], v[160:161], s[12:13], v[40:41]
	v_fma_f64 v[40:41], v[160:161], s[6:7], v[40:41]
	v_mov_b32_e32 v89, v105
	v_mad_co_u64_u32 v[100:101], null, s16, v164, 0
	v_add_f64_e32 v[46:47], v[74:75], v[46:47]
	v_add_f64_e32 v[42:43], v[62:63], v[42:43]
	v_fma_f64 v[125:126], v[115:116], s[2:3], v[125:126]
	v_mov_b32_e32 v88, v103
	v_fma_f64 v[121:122], v[112:113], s[2:3], v[121:122]
	v_fma_f64 v[82:83], v[112:113], s[2:3], v[82:83]
	v_mov_b32_e32 v93, v101
	v_fma_f64 v[129:130], v[127:128], s[2:3], v[129:130]
	v_fma_f64 v[80:81], v[127:128], s[2:3], v[80:81]
	v_mov_b32_e32 v90, v107
	v_mov_b32_e32 v96, v150
	v_mad_co_u64_u32 v[131:132], null, s17, v164, v[93:94]
	v_add_f64_e64 v[132:133], v[64:65], -v[68:69]
	v_add_f64_e64 v[64:65], v[68:69], -v[64:65]
	v_add_f64_e32 v[68:69], v[158:159], v[68:69]
	v_fma_f64 v[158:159], v[66:67], s[6:7], v[119:120]
	v_fma_f64 v[123:124], v[117:118], s[2:3], v[123:124]
	;; [unrolled: 1-line block ×5, first 2 shown]
	v_add_f64_e32 v[56:57], v[56:57], v[60:61]
	v_add_f64_e32 v[117:118], v[138:139], v[140:141]
	v_mad_co_u64_u32 v[111:112], null, s17, v165, v[88:89]
	v_fma_f64 v[60:61], v[156:157], s[14:15], v[70:71]
	v_fma_f64 v[58:59], v[154:155], s[14:15], v[58:59]
	v_mad_co_u64_u32 v[88:89], null, s17, v166, v[89:90]
	v_mad_co_u64_u32 v[89:90], null, s17, v167, v[90:91]
	v_fma_f64 v[44:45], v[156:157], s[8:9], v[44:45]
	v_fma_f64 v[50:51], v[154:155], s[8:9], v[50:51]
	v_add_f64_e32 v[48:49], v[48:49], v[142:143]
	v_fma_f64 v[70:71], v[66:67], s[8:9], v[162:163]
	v_fma_f64 v[66:67], v[66:67], s[14:15], v[40:41]
	v_mad_co_u64_u32 v[112:113], null, s17, v169, v[94:95]
	v_mad_co_u64_u32 v[94:95], null, s17, v170, v[95:96]
	v_mul_f64_e32 v[127:128], s[6:7], v[125:126]
	v_mov_b32_e32 v93, v153
	v_add_co_u32 v40, vcc_lo, s10, v108
	v_mad_co_u64_u32 v[90:91], null, s17, v168, v[91:92]
	v_mad_co_u64_u32 v[95:96], null, s17, v171, v[96:97]
	v_add_f64_e32 v[46:47], v[78:79], v[46:47]
	v_add_f64_e32 v[54:55], v[54:55], v[42:43]
	v_mad_co_u64_u32 v[96:97], null, s17, v172, v[97:98]
	v_add_f64_e32 v[115:116], v[132:133], v[134:135]
	v_add_f64_e32 v[68:69], v[68:69], v[72:73]
	;; [unrolled: 1-line block ×3, first 2 shown]
	v_fma_f64 v[62:63], v[160:161], s[8:9], v[158:159]
	v_mul_f64_e32 v[72:73], s[18:19], v[121:122]
	v_mul_f64_e32 v[74:75], s[2:3], v[123:124]
	v_fma_f64 v[119:120], v[160:161], s[14:15], v[119:120]
	v_mul_f64_e32 v[132:133], s[8:9], v[129:130]
	v_mul_f64_e32 v[136:137], s[14:15], v[82:83]
	;; [unrolled: 1-line block ×5, first 2 shown]
	v_add_f64_e32 v[52:53], v[52:53], v[56:57]
	s_wait_alu 0xfffd
	v_add_co_ci_u32_e32 v41, vcc_lo, s11, v109, vcc_lo
	v_lshlrev_b64_e32 v[91:92], 4, v[92:93]
	v_dual_mov_b32 v103, v111 :: v_dual_mov_b32 v148, v94
	v_dual_mov_b32 v105, v88 :: v_dual_mov_b32 v150, v95
	;; [unrolled: 1-line block ×3, first 2 shown]
	v_add_co_u32 v40, vcc_lo, v40, v98
	v_dual_mov_b32 v101, v131 :: v_dual_mov_b32 v146, v112
	s_wait_alu 0xfffd
	v_add_co_ci_u32_e32 v41, vcc_lo, v41, v99, vcc_lo
	v_mov_b32_e32 v111, v90
	s_delay_alu instid0(VALU_DEP_3)
	v_lshlrev_b64_e32 v[42:43], 4, v[100:101]
	v_add_co_u32 v90, vcc_lo, v40, v91
	s_wait_alu 0xfffd
	v_add_co_ci_u32_e32 v91, vcc_lo, v41, v92, vcc_lo
	v_lshlrev_b64_e32 v[95:96], 4, v[104:105]
	v_lshlrev_b64_e32 v[99:100], 4, v[106:107]
	v_lshlrev_b64_e32 v[105:106], 4, v[147:148]
	v_fma_f64 v[50:51], v[115:116], s[2:3], v[50:51]
	v_add_f64_e32 v[68:69], v[76:77], v[68:69]
	v_fma_f64 v[76:77], v[64:65], s[2:3], v[60:61]
	v_fma_f64 v[78:79], v[64:65], s[2:3], v[44:45]
	;; [unrolled: 1-line block ×3, first 2 shown]
	v_fma_f64 v[62:63], v[80:81], s[8:9], -v[72:73]
	v_fma_f64 v[72:73], v[86:87], s[6:7], -v[74:75]
	v_fma_f64 v[74:75], v[84:85], s[2:3], v[127:128]
	v_fma_f64 v[93:94], v[117:118], s[2:3], v[119:120]
	;; [unrolled: 1-line block ×7, first 2 shown]
	v_fma_f64 v[108:109], v[123:124], s[12:13], -v[140:141]
	v_fma_f64 v[58:59], v[115:116], s[2:3], v[58:59]
	v_fma_f64 v[112:113], v[121:122], s[14:15], -v[134:135]
	v_lshlrev_b64_e32 v[44:45], 4, v[102:103]
	v_add_co_u32 v117, vcc_lo, v40, v42
	s_wait_alu 0xfffd
	v_add_co_ci_u32_e32 v118, vcc_lo, v41, v43, vcc_lo
	v_add_f64_e64 v[42:43], v[52:53], -v[54:55]
	s_delay_alu instid0(VALU_DEP_4)
	v_add_co_u32 v119, vcc_lo, v40, v44
	s_wait_alu 0xfffd
	v_add_co_ci_u32_e32 v120, vcc_lo, v41, v45, vcc_lo
	v_lshlrev_b64_e32 v[101:102], 4, v[110:111]
	v_lshlrev_b64_e32 v[103:104], 4, v[145:146]
	;; [unrolled: 1-line block ×4, first 2 shown]
	v_add_f64_e64 v[44:45], v[68:69], -v[46:47]
	v_add_f64_e32 v[48:49], v[68:69], v[46:47]
	v_add_f64_e32 v[46:47], v[52:53], v[54:55]
	v_add_f64_e64 v[56:57], v[76:77], -v[72:73]
	v_add_f64_e64 v[60:61], v[78:79], -v[74:75]
	v_add_f64_e32 v[68:69], v[76:77], v[72:73]
	v_add_f64_e32 v[72:73], v[78:79], v[74:75]
	;; [unrolled: 1-line block ×5, first 2 shown]
	v_add_f64_e64 v[80:81], v[50:51], -v[80:81]
	v_add_f64_e32 v[66:67], v[84:85], v[108:109]
	v_add_f64_e64 v[52:53], v[58:59], -v[62:63]
	v_add_f64_e32 v[64:65], v[58:59], v[62:63]
	v_add_f64_e32 v[62:63], v[88:89], v[112:113]
	v_add_f64_e64 v[78:79], v[93:94], -v[82:83]
	v_add_f64_e64 v[58:59], v[86:87], -v[97:98]
	;; [unrolled: 1-line block ×4, first 2 shown]
	v_add_co_u32 v82, vcc_lo, v40, v95
	s_wait_alu 0xfffd
	v_add_co_ci_u32_e32 v83, vcc_lo, v41, v96, vcc_lo
	v_add_co_u32 v84, vcc_lo, v40, v99
	s_wait_alu 0xfffd
	v_add_co_ci_u32_e32 v85, vcc_lo, v41, v100, vcc_lo
	;; [unrolled: 3-line block ×7, first 2 shown]
	s_clause 0x9
	global_store_b128 v[90:91], v[46:49], off
	global_store_b128 v[117:118], v[74:77], off
	;; [unrolled: 1-line block ×10, first 2 shown]
	s_and_b32 exec_lo, exec_lo, s0
	s_cbranch_execz .LBB0_22
; %bb.21:
	v_subrev_nc_u32_e32 v42, 34, v194
	v_dual_mov_b32 v43, 0 :: v_dual_add_nc_u32 v118, 0x242, v194
	v_add_nc_u32_e32 v125, 0x7d6, v194
	s_delay_alu instid0(VALU_DEP_3) | instskip(NEXT) | instid1(VALU_DEP_3)
	v_cndmask_b32_e64 v42, v42, v114, s0
	v_mad_co_u64_u32 v[94:95], null, s16, v118, 0
	v_add_nc_u32_e32 v120, 0x3da, v194
	s_delay_alu instid0(VALU_DEP_3) | instskip(NEXT) | instid1(VALU_DEP_1)
	v_mul_i32_i24_e32 v42, 9, v42
	v_lshlrev_b64_e32 v[42:43], 4, v[42:43]
	s_delay_alu instid0(VALU_DEP_1) | instskip(SKIP_1) | instid1(VALU_DEP_2)
	v_add_co_u32 v74, vcc_lo, s4, v42
	s_wait_alu 0xfffd
	v_add_co_ci_u32_e32 v75, vcc_lo, s5, v43, vcc_lo
	s_clause 0x8
	global_load_b128 v[42:45], v[74:75], off offset:3024
	global_load_b128 v[46:49], v[74:75], off offset:3056
	global_load_b128 v[50:53], v[74:75], off offset:3088
	global_load_b128 v[54:57], v[74:75], off offset:3120
	global_load_b128 v[58:61], v[74:75], off offset:2992
	global_load_b128 v[62:65], v[74:75], off offset:3008
	global_load_b128 v[66:69], v[74:75], off offset:3040
	global_load_b128 v[70:73], v[74:75], off offset:3072
	global_load_b128 v[74:77], v[74:75], off offset:3104
	s_wait_loadcnt 0x8
	v_mul_f64_e32 v[78:79], v[22:23], v[44:45]
	s_wait_loadcnt 0x7
	v_mul_f64_e32 v[80:81], v[18:19], v[48:49]
	;; [unrolled: 2-line block ×3, first 2 shown]
	v_mul_f64_e32 v[52:53], v[14:15], v[52:53]
	v_mul_f64_e32 v[48:49], v[2:3], v[48:49]
	;; [unrolled: 1-line block ×3, first 2 shown]
	s_wait_loadcnt 0x5
	v_mul_f64_e32 v[84:85], v[34:35], v[56:57]
	v_mul_f64_e32 v[56:57], v[38:39], v[56:57]
	s_wait_loadcnt 0x4
	v_mul_f64_e32 v[86:87], v[30:31], v[60:61]
	v_mul_f64_e32 v[60:61], v[26:27], v[60:61]
	v_fma_f64 v[6:7], v[6:7], v[42:43], -v[78:79]
	v_fma_f64 v[2:3], v[2:3], v[46:47], -v[80:81]
	v_fma_f64 v[14:15], v[14:15], v[50:51], v[82:83]
	v_fma_f64 v[10:11], v[10:11], v[50:51], -v[52:53]
	v_fma_f64 v[18:19], v[18:19], v[46:47], v[48:49]
	v_fma_f64 v[22:23], v[22:23], v[42:43], v[44:45]
	;; [unrolled: 1-line block ×3, first 2 shown]
	v_fma_f64 v[34:35], v[34:35], v[54:55], -v[56:57]
	s_wait_loadcnt 0x3
	v_mul_f64_e32 v[42:43], v[20:21], v[64:65]
	s_wait_loadcnt 0x2
	v_mul_f64_e32 v[46:47], v[16:17], v[68:69]
	v_mul_f64_e32 v[48:49], v[0:1], v[68:69]
	s_wait_loadcnt 0x1
	v_mul_f64_e32 v[50:51], v[12:13], v[72:73]
	s_wait_loadcnt 0x0
	v_mul_f64_e32 v[52:53], v[36:37], v[76:77]
	v_mul_f64_e32 v[56:57], v[32:33], v[76:77]
	v_fma_f64 v[26:27], v[26:27], v[58:59], -v[86:87]
	v_mul_f64_e32 v[44:45], v[4:5], v[64:65]
	v_mul_f64_e32 v[54:55], v[8:9], v[72:73]
	v_fma_f64 v[30:31], v[30:31], v[58:59], v[60:61]
	v_add_f64_e64 v[72:73], v[2:3], -v[6:7]
	v_add_f64_e32 v[68:69], v[2:3], v[10:11]
	v_add_f64_e32 v[58:59], v[18:19], v[14:15]
	v_add_f64_e64 v[76:77], v[22:23], -v[18:19]
	v_add_f64_e32 v[60:61], v[22:23], v[38:39]
	v_add_f64_e32 v[64:65], v[6:7], v[34:35]
	v_fma_f64 v[4:5], v[4:5], v[62:63], -v[42:43]
	v_fma_f64 v[0:1], v[0:1], v[66:67], -v[46:47]
	v_add_f64_e64 v[42:43], v[22:23], -v[38:39]
	v_fma_f64 v[8:9], v[8:9], v[70:71], -v[50:51]
	v_fma_f64 v[32:33], v[32:33], v[74:75], -v[52:53]
	v_fma_f64 v[36:37], v[36:37], v[74:75], v[56:57]
	v_fma_f64 v[16:17], v[16:17], v[66:67], v[48:49]
	;; [unrolled: 1-line block ×4, first 2 shown]
	v_add_f64_e64 v[46:47], v[6:7], -v[34:35]
	v_add_f64_e64 v[44:45], v[18:19], -v[14:15]
	;; [unrolled: 1-line block ×8, first 2 shown]
	v_add_f64_e32 v[22:23], v[30:31], v[22:23]
	v_fma_f64 v[56:57], v[68:69], -0.5, v[26:27]
	v_fma_f64 v[50:51], v[58:59], -0.5, v[30:31]
	v_add_f64_e64 v[68:69], v[6:7], -v[2:3]
	v_fma_f64 v[52:53], v[60:61], -0.5, v[30:31]
	v_fma_f64 v[54:55], v[64:65], -0.5, v[26:27]
	v_add_f64_e32 v[104:105], v[24:25], v[4:5]
	v_add_f64_e32 v[6:7], v[26:27], v[6:7]
	v_mad_co_u64_u32 v[58:59], null, s16, v114, 0
	v_add_f64_e32 v[60:61], v[0:1], v[8:9]
	v_add_f64_e32 v[62:63], v[4:5], v[32:33]
	v_add_f64_e64 v[112:113], v[4:5], -v[32:33]
	v_add_f64_e32 v[66:67], v[20:21], v[36:37]
	v_add_f64_e32 v[64:65], v[16:17], v[12:13]
	;; [unrolled: 1-line block ×3, first 2 shown]
	v_add_f64_e64 v[106:107], v[20:21], -v[36:37]
	v_add_f64_e64 v[108:109], v[16:17], -v[12:13]
	v_add_f64_e64 v[115:116], v[0:1], -v[8:9]
	v_add_nc_u32_e32 v117, 0x176, v194
	v_fma_f64 v[90:91], v[42:43], s[6:7], v[56:57]
	v_fma_f64 v[56:57], v[42:43], s[12:13], v[56:57]
	v_fma_f64 v[84:85], v[46:47], s[6:7], v[50:51]
	v_fma_f64 v[86:87], v[48:49], s[12:13], v[52:53]
	v_fma_f64 v[88:89], v[44:45], s[12:13], v[54:55]
	v_fma_f64 v[54:55], v[44:45], s[6:7], v[54:55]
	v_fma_f64 v[52:53], v[48:49], s[6:7], v[52:53]
	v_fma_f64 v[50:51], v[46:47], s[12:13], v[50:51]
	v_add_f64_e32 v[2:3], v[6:7], v[2:3]
	v_fma_f64 v[26:27], v[60:61], -0.5, v[24:25]
	v_fma_f64 v[24:25], v[62:63], -0.5, v[24:25]
	v_add_f64_e32 v[60:61], v[68:69], v[70:71]
	v_add_f64_e32 v[62:63], v[72:73], v[74:75]
	v_fma_f64 v[30:31], v[64:65], -0.5, v[28:29]
	v_fma_f64 v[28:29], v[66:67], -0.5, v[28:29]
	v_add_f64_e32 v[64:65], v[76:77], v[78:79]
	v_add_f64_e32 v[66:67], v[80:81], v[82:83]
	;; [unrolled: 1-line block ×3, first 2 shown]
	v_add_f64_e64 v[79:80], v[32:33], -v[8:9]
	v_add_f64_e64 v[81:82], v[8:9], -v[32:33]
	v_fma_f64 v[74:75], v[44:45], s[8:9], v[90:91]
	v_fma_f64 v[44:45], v[44:45], s[14:15], v[56:57]
	;; [unrolled: 1-line block ×7, first 2 shown]
	v_mov_b32_e32 v52, v59
	v_fma_f64 v[48:49], v[48:49], s[14:15], v[50:51]
	v_mov_b32_e32 v57, v95
	v_mad_co_u64_u32 v[98:99], null, s16, v120, 0
	v_add_nc_u32_e32 v121, 0x4a6, v194
	v_add_f64_e64 v[83:84], v[20:21], -v[16:17]
	v_add_f64_e64 v[20:21], v[16:17], -v[20:21]
	v_add_f64_e32 v[16:17], v[110:111], v[16:17]
	v_add_f64_e64 v[85:86], v[36:37], -v[12:13]
	v_add_f64_e64 v[87:88], v[12:13], -v[36:37]
	v_fma_f64 v[18:19], v[106:107], s[12:13], v[26:27]
	v_fma_f64 v[22:23], v[106:107], s[6:7], v[26:27]
	;; [unrolled: 1-line block ×6, first 2 shown]
	v_mad_co_u64_u32 v[92:93], null, s16, v117, 0
	v_add_nc_u32_e32 v119, 0x30e, v194
	v_add_f64_e32 v[2:3], v[2:3], v[10:11]
	v_add_f64_e32 v[6:7], v[6:7], v[14:15]
	v_mad_co_u64_u32 v[55:56], null, s16, v125, 0
	v_fma_f64 v[74:75], v[60:61], s[2:3], v[74:75]
	v_fma_f64 v[44:45], v[60:61], s[2:3], v[44:45]
	v_mov_b32_e32 v60, v99
	v_mad_co_u64_u32 v[100:101], null, s16, v121, 0
	v_add_nc_u32_e32 v124, 0x70a, v194
	v_fma_f64 v[68:69], v[64:65], s[2:3], v[68:69]
	v_fma_f64 v[70:71], v[66:67], s[2:3], v[70:71]
	;; [unrolled: 1-line block ×5, first 2 shown]
	v_mov_b32_e32 v61, v101
	v_mad_co_u64_u32 v[53:54], null, s16, v124, 0
	v_fma_f64 v[48:49], v[64:65], s[2:3], v[48:49]
	v_add_f64_e32 v[20:21], v[20:21], v[87:88]
	v_fma_f64 v[10:11], v[108:109], s[14:15], v[18:19]
	s_delay_alu instid0(VALU_DEP_4)
	v_mad_co_u64_u32 v[76:77], null, s17, v114, v[52:53]
	v_add_f64_e64 v[77:78], v[4:5], -v[0:1]
	v_add_f64_e64 v[4:5], v[0:1], -v[4:5]
	v_add_f64_e32 v[0:1], v[104:105], v[0:1]
	v_fma_f64 v[104:105], v[115:116], s[12:13], v[28:29]
	v_fma_f64 v[28:29], v[115:116], s[6:7], v[28:29]
	v_mov_b32_e32 v52, v93
	v_mad_co_u64_u32 v[96:97], null, s16, v119, 0
	v_add_nc_u32_e32 v122, 0x572, v194
	v_fma_f64 v[14:15], v[106:107], s[14:15], v[26:27]
	s_delay_alu instid0(VALU_DEP_4)
	v_mad_co_u64_u32 v[63:64], null, s17, v117, v[52:53]
	v_mad_co_u64_u32 v[64:65], null, s17, v118, v[57:58]
	v_mov_b32_e32 v59, v97
	v_fma_f64 v[18:19], v[115:116], s[8:9], v[89:90]
	v_mad_co_u64_u32 v[102:103], null, s16, v122, 0
	v_add_nc_u32_e32 v123, 0x63e, v194
	s_delay_alu instid0(VALU_DEP_4)
	v_mad_co_u64_u32 v[65:66], null, s17, v119, v[59:60]
	v_add_f64_e32 v[34:35], v[2:3], v[34:35]
	v_add_f64_e32 v[6:7], v[6:7], v[38:39]
	v_dual_mov_b32 v93, v63 :: v_dual_mov_b32 v62, v103
	v_mov_b32_e32 v95, v64
	v_mul_f64_e32 v[87:88], s[2:3], v[46:47]
	v_mov_b32_e32 v97, v65
	v_mov_b32_e32 v59, v76
	v_mad_co_u64_u32 v[50:51], null, s16, v123, 0
	v_mul_f64_e32 v[89:90], s[18:19], v[48:49]
	v_lshlrev_b64_e32 v[2:3], 4, v[94:95]
	s_delay_alu instid0(VALU_DEP_3)
	v_mad_co_u64_u32 v[51:52], null, s17, v123, v[51:52]
	v_add_f64_e32 v[66:67], v[77:78], v[79:80]
	v_add_f64_e32 v[0:1], v[0:1], v[8:9]
	v_add_f64_e32 v[8:9], v[16:17], v[12:13]
	v_add_f64_e32 v[77:78], v[83:84], v[85:86]
	v_fma_f64 v[12:13], v[108:109], s[8:9], v[22:23]
	v_fma_f64 v[16:17], v[106:107], s[8:9], v[24:25]
	;; [unrolled: 1-line block ×4, first 2 shown]
	v_mul_f64_e32 v[28:29], s[14:15], v[68:69]
	v_mul_f64_e32 v[83:84], s[8:9], v[44:45]
	v_add_f64_e32 v[4:5], v[4:5], v[81:82]
	v_fma_f64 v[22:23], v[115:116], s[14:15], v[30:31]
	v_mul_f64_e32 v[30:31], s[12:13], v[70:71]
	v_mul_f64_e32 v[79:80], s[2:3], v[72:73]
	;; [unrolled: 1-line block ×4, first 2 shown]
	v_mad_co_u64_u32 v[103:104], null, s17, v120, v[60:61]
	v_mad_co_u64_u32 v[60:61], null, s17, v121, v[61:62]
	;; [unrolled: 1-line block ×4, first 2 shown]
	s_delay_alu instid0(VALU_DEP_4) | instskip(SKIP_1) | instid1(VALU_DEP_4)
	v_mov_b32_e32 v99, v103
	v_lshlrev_b64_e32 v[50:51], 4, v[50:51]
	v_dual_mov_b32 v101, v60 :: v_dual_mov_b32 v54, v104
	v_mad_co_u64_u32 v[56:57], null, s17, v125, v[56:57]
	v_lshlrev_b64_e32 v[57:58], 4, v[58:59]
	v_lshlrev_b64_e32 v[59:60], 4, v[96:97]
	s_delay_alu instid0(VALU_DEP_4)
	v_lshlrev_b64_e32 v[52:53], 4, v[53:54]
	v_mov_b32_e32 v103, v61
	v_lshlrev_b64_e32 v[54:55], 4, v[55:56]
	v_add_co_u32 v56, vcc_lo, v40, v57
	v_add_f64_e32 v[32:33], v[0:1], v[32:33]
	v_add_f64_e32 v[8:9], v[8:9], v[36:37]
	v_fma_f64 v[36:37], v[66:67], s[2:3], v[10:11]
	v_fma_f64 v[38:39], v[66:67], s[2:3], v[12:13]
	;; [unrolled: 1-line block ×9, first 2 shown]
	v_fma_f64 v[30:31], v[46:47], s[12:13], -v[79:80]
	v_fma_f64 v[46:47], v[70:71], s[2:3], v[85:86]
	v_fma_f64 v[64:65], v[4:5], s[2:3], v[16:17]
	v_fma_f64 v[42:43], v[48:49], s[14:15], -v[81:82]
	v_fma_f64 v[48:49], v[72:73], s[6:7], -v[87:88]
	v_fma_f64 v[76:77], v[77:78], s[2:3], v[22:23]
	v_fma_f64 v[68:69], v[74:75], s[8:9], -v[89:90]
	v_lshlrev_b64_e32 v[0:1], 4, v[92:93]
	s_wait_alu 0xfffd
	v_add_co_ci_u32_e32 v57, vcc_lo, v41, v58, vcc_lo
	v_lshlrev_b64_e32 v[70:71], 4, v[98:99]
	v_lshlrev_b64_e32 v[72:73], 4, v[100:101]
	;; [unrolled: 1-line block ×3, first 2 shown]
	v_add_co_u32 v78, vcc_lo, v40, v0
	s_wait_alu 0xfffd
	v_add_co_ci_u32_e32 v79, vcc_lo, v41, v1, vcc_lo
	v_add_co_u32 v80, vcc_lo, v40, v2
	s_wait_alu 0xfffd
	v_add_co_ci_u32_e32 v81, vcc_lo, v41, v3, vcc_lo
	v_add_f64_e32 v[0:1], v[32:33], v[34:35]
	v_add_f64_e32 v[2:3], v[8:9], v[6:7]
	v_add_f64_e64 v[6:7], v[8:9], -v[6:7]
	v_add_f64_e64 v[4:5], v[32:33], -v[34:35]
	v_add_f64_e32 v[8:9], v[36:37], v[24:25]
	v_add_f64_e32 v[10:11], v[66:67], v[44:45]
	v_add_f64_e64 v[24:25], v[36:37], -v[24:25]
	v_add_f64_e32 v[12:13], v[62:63], v[26:27]
	v_add_f64_e64 v[28:29], v[62:63], -v[26:27]
	v_add_f64_e32 v[14:15], v[105:106], v[46:47]
	v_add_f64_e32 v[16:17], v[64:65], v[30:31]
	;; [unrolled: 1-line block ×4, first 2 shown]
	v_add_f64_e64 v[26:27], v[66:67], -v[44:45]
	v_add_f64_e32 v[22:23], v[76:77], v[68:69]
	v_add_f64_e64 v[32:33], v[64:65], -v[30:31]
	v_add_f64_e64 v[30:31], v[105:106], -v[46:47]
	;; [unrolled: 1-line block ×5, first 2 shown]
	v_add_co_u32 v42, vcc_lo, v40, v59
	s_wait_alu 0xfffd
	v_add_co_ci_u32_e32 v43, vcc_lo, v41, v60, vcc_lo
	v_add_co_u32 v44, vcc_lo, v40, v70
	s_wait_alu 0xfffd
	v_add_co_ci_u32_e32 v45, vcc_lo, v41, v71, vcc_lo
	;; [unrolled: 3-line block ×7, first 2 shown]
	s_clause 0x9
	global_store_b128 v[56:57], v[0:3], off
	global_store_b128 v[78:79], v[8:11], off
	;; [unrolled: 1-line block ×10, first 2 shown]
.LBB0_22:
	s_nop 0
	s_sendmsg sendmsg(MSG_DEALLOC_VGPRS)
	s_endpgm
	.section	.rodata,"a",@progbits
	.p2align	6, 0x0
	.amdhsa_kernel fft_rtc_fwd_len2040_factors_17_4_3_10_wgs_170_tpt_170_halfLds_dp_op_CI_CI_sbrr_dirReg
		.amdhsa_group_segment_fixed_size 0
		.amdhsa_private_segment_fixed_size 0
		.amdhsa_kernarg_size 104
		.amdhsa_user_sgpr_count 2
		.amdhsa_user_sgpr_dispatch_ptr 0
		.amdhsa_user_sgpr_queue_ptr 0
		.amdhsa_user_sgpr_kernarg_segment_ptr 1
		.amdhsa_user_sgpr_dispatch_id 0
		.amdhsa_user_sgpr_private_segment_size 0
		.amdhsa_wavefront_size32 1
		.amdhsa_uses_dynamic_stack 0
		.amdhsa_enable_private_segment 0
		.amdhsa_system_sgpr_workgroup_id_x 1
		.amdhsa_system_sgpr_workgroup_id_y 0
		.amdhsa_system_sgpr_workgroup_id_z 0
		.amdhsa_system_sgpr_workgroup_info 0
		.amdhsa_system_vgpr_workitem_id 0
		.amdhsa_next_free_vgpr 237
		.amdhsa_next_free_sgpr 62
		.amdhsa_reserve_vcc 1
		.amdhsa_float_round_mode_32 0
		.amdhsa_float_round_mode_16_64 0
		.amdhsa_float_denorm_mode_32 3
		.amdhsa_float_denorm_mode_16_64 3
		.amdhsa_fp16_overflow 0
		.amdhsa_workgroup_processor_mode 1
		.amdhsa_memory_ordered 1
		.amdhsa_forward_progress 0
		.amdhsa_round_robin_scheduling 0
		.amdhsa_exception_fp_ieee_invalid_op 0
		.amdhsa_exception_fp_denorm_src 0
		.amdhsa_exception_fp_ieee_div_zero 0
		.amdhsa_exception_fp_ieee_overflow 0
		.amdhsa_exception_fp_ieee_underflow 0
		.amdhsa_exception_fp_ieee_inexact 0
		.amdhsa_exception_int_div_zero 0
	.end_amdhsa_kernel
	.text
.Lfunc_end0:
	.size	fft_rtc_fwd_len2040_factors_17_4_3_10_wgs_170_tpt_170_halfLds_dp_op_CI_CI_sbrr_dirReg, .Lfunc_end0-fft_rtc_fwd_len2040_factors_17_4_3_10_wgs_170_tpt_170_halfLds_dp_op_CI_CI_sbrr_dirReg
                                        ; -- End function
	.section	.AMDGPU.csdata,"",@progbits
; Kernel info:
; codeLenInByte = 15044
; NumSgprs: 64
; NumVgprs: 237
; ScratchSize: 0
; MemoryBound: 1
; FloatMode: 240
; IeeeMode: 1
; LDSByteSize: 0 bytes/workgroup (compile time only)
; SGPRBlocks: 7
; VGPRBlocks: 29
; NumSGPRsForWavesPerEU: 64
; NumVGPRsForWavesPerEU: 237
; Occupancy: 6
; WaveLimiterHint : 1
; COMPUTE_PGM_RSRC2:SCRATCH_EN: 0
; COMPUTE_PGM_RSRC2:USER_SGPR: 2
; COMPUTE_PGM_RSRC2:TRAP_HANDLER: 0
; COMPUTE_PGM_RSRC2:TGID_X_EN: 1
; COMPUTE_PGM_RSRC2:TGID_Y_EN: 0
; COMPUTE_PGM_RSRC2:TGID_Z_EN: 0
; COMPUTE_PGM_RSRC2:TIDIG_COMP_CNT: 0
	.text
	.p2alignl 7, 3214868480
	.fill 96, 4, 3214868480
	.type	__hip_cuid_e176c3860941dd41,@object ; @__hip_cuid_e176c3860941dd41
	.section	.bss,"aw",@nobits
	.globl	__hip_cuid_e176c3860941dd41
__hip_cuid_e176c3860941dd41:
	.byte	0                               ; 0x0
	.size	__hip_cuid_e176c3860941dd41, 1

	.ident	"AMD clang version 19.0.0git (https://github.com/RadeonOpenCompute/llvm-project roc-6.4.0 25133 c7fe45cf4b819c5991fe208aaa96edf142730f1d)"
	.section	".note.GNU-stack","",@progbits
	.addrsig
	.addrsig_sym __hip_cuid_e176c3860941dd41
	.amdgpu_metadata
---
amdhsa.kernels:
  - .args:
      - .actual_access:  read_only
        .address_space:  global
        .offset:         0
        .size:           8
        .value_kind:     global_buffer
      - .offset:         8
        .size:           8
        .value_kind:     by_value
      - .actual_access:  read_only
        .address_space:  global
        .offset:         16
        .size:           8
        .value_kind:     global_buffer
      - .actual_access:  read_only
        .address_space:  global
        .offset:         24
        .size:           8
        .value_kind:     global_buffer
      - .actual_access:  read_only
        .address_space:  global
        .offset:         32
        .size:           8
        .value_kind:     global_buffer
      - .offset:         40
        .size:           8
        .value_kind:     by_value
      - .actual_access:  read_only
        .address_space:  global
        .offset:         48
        .size:           8
        .value_kind:     global_buffer
      - .actual_access:  read_only
        .address_space:  global
        .offset:         56
        .size:           8
        .value_kind:     global_buffer
      - .offset:         64
        .size:           4
        .value_kind:     by_value
      - .actual_access:  read_only
        .address_space:  global
        .offset:         72
        .size:           8
        .value_kind:     global_buffer
      - .actual_access:  read_only
        .address_space:  global
        .offset:         80
        .size:           8
        .value_kind:     global_buffer
      - .actual_access:  read_only
        .address_space:  global
        .offset:         88
        .size:           8
        .value_kind:     global_buffer
      - .actual_access:  write_only
        .address_space:  global
        .offset:         96
        .size:           8
        .value_kind:     global_buffer
    .group_segment_fixed_size: 0
    .kernarg_segment_align: 8
    .kernarg_segment_size: 104
    .language:       OpenCL C
    .language_version:
      - 2
      - 0
    .max_flat_workgroup_size: 170
    .name:           fft_rtc_fwd_len2040_factors_17_4_3_10_wgs_170_tpt_170_halfLds_dp_op_CI_CI_sbrr_dirReg
    .private_segment_fixed_size: 0
    .sgpr_count:     64
    .sgpr_spill_count: 0
    .symbol:         fft_rtc_fwd_len2040_factors_17_4_3_10_wgs_170_tpt_170_halfLds_dp_op_CI_CI_sbrr_dirReg.kd
    .uniform_work_group_size: 1
    .uses_dynamic_stack: false
    .vgpr_count:     237
    .vgpr_spill_count: 0
    .wavefront_size: 32
    .workgroup_processor_mode: 1
amdhsa.target:   amdgcn-amd-amdhsa--gfx1201
amdhsa.version:
  - 1
  - 2
...

	.end_amdgpu_metadata
